;; amdgpu-corpus repo=zolotukhin/zinc kind=compiled arch=gfx90a opt=O3
	.text
	.amdgcn_target "amdgcn-amd-amdhsa--gfx90a"
	.amdhsa_code_object_version 6
	.protected	rms_norm                ; -- Begin function rms_norm
	.globl	rms_norm
	.p2align	8
	.type	rms_norm,@function
rms_norm:                               ; @rms_norm
; %bb.0:
	s_load_dwordx8 s[8:15], s[4:5], 0x0
	v_mov_b32_e32 v4, 0
	s_waitcnt lgkmcnt(0)
	s_mul_hi_u32 s3, s14, s6
	s_mul_i32 s2, s14, s6
	s_lshl_b64 s[2:3], s[2:3], 2
	s_add_u32 s16, s8, s2
	v_cmp_gt_u32_e64 s[0:1], s14, v0
	s_addc_u32 s17, s9, s3
	s_and_saveexec_b64 s[6:7], s[0:1]
	s_cbranch_execz .LBB0_4
; %bb.1:
	s_load_dword s18, s[4:5], 0x2c
	s_mov_b64 s[8:9], 0
	v_mov_b32_e32 v3, 0
	v_mov_b32_e32 v1, s17
	;; [unrolled: 1-line block ×3, first 2 shown]
	s_waitcnt lgkmcnt(0)
	s_and_b32 s18, s18, 0xffff
	v_mov_b32_e32 v2, v0
.LBB0_2:                                ; =>This Inner Loop Header: Depth=1
	v_lshlrev_b64 v[6:7], 2, v[2:3]
	v_add_co_u32_e32 v6, vcc, s16, v6
	v_addc_co_u32_e32 v7, vcc, v1, v7, vcc
	global_load_dword v5, v[6:7], off
	v_add_u32_e32 v2, s18, v2
	v_cmp_le_u32_e32 vcc, s14, v2
	s_or_b64 s[8:9], vcc, s[8:9]
	s_waitcnt vmcnt(0)
	v_fmac_f32_e32 v4, v5, v5
	s_andn2_b64 exec, exec, s[8:9]
	s_cbranch_execnz .LBB0_2
; %bb.3:
	s_or_b64 exec, exec, s[8:9]
.LBB0_4:
	s_or_b64 exec, exec, s[6:7]
	v_mbcnt_lo_u32_b32 v1, -1, 0
	v_mbcnt_hi_u32_b32 v6, -1, v1
	v_and_b32_e32 v7, 63, v6
	v_cmp_gt_u32_e32 vcc, 48, v7
	v_cndmask_b32_e64 v1, 0, 1, vcc
	v_lshlrev_b32_e32 v1, 4, v1
	v_add_lshl_u32 v1, v1, v6, 2
	ds_bpermute_b32 v2, v1, v4
	v_cmp_gt_u32_e32 vcc, 56, v7
	v_cndmask_b32_e64 v3, 0, 1, vcc
	v_lshlrev_b32_e32 v3, 3, v3
	v_cmp_gt_u32_e32 vcc, 60, v7
	s_waitcnt lgkmcnt(0)
	v_add_f32_e32 v4, v4, v2
	v_add_lshl_u32 v2, v3, v6, 2
	ds_bpermute_b32 v3, v2, v4
	v_cndmask_b32_e64 v5, 0, 1, vcc
	v_lshlrev_b32_e32 v5, 2, v5
	v_cmp_gt_u32_e32 vcc, 62, v7
	v_cndmask_b32_e64 v8, 0, 1, vcc
	s_waitcnt lgkmcnt(0)
	v_add_f32_e32 v4, v4, v3
	v_add_lshl_u32 v3, v5, v6, 2
	ds_bpermute_b32 v5, v3, v4
	v_lshlrev_b32_e32 v8, 1, v8
	v_cmp_ne_u32_e32 vcc, 63, v7
	v_and_b32_e32 v7, 31, v0
	s_waitcnt lgkmcnt(0)
	v_add_f32_e32 v4, v4, v5
	v_add_lshl_u32 v5, v8, v6, 2
	ds_bpermute_b32 v8, v5, v4
	v_addc_co_u32_e32 v6, vcc, 0, v6, vcc
	v_lshlrev_b32_e32 v6, 2, v6
	v_cmp_eq_u32_e32 vcc, 0, v7
	s_waitcnt lgkmcnt(0)
	v_add_f32_e32 v4, v4, v8
	ds_bpermute_b32 v8, v6, v4
	s_and_saveexec_b64 s[6:7], vcc
	s_cbranch_execz .LBB0_6
; %bb.5:
	s_waitcnt lgkmcnt(0)
	v_add_f32_e32 v4, v4, v8
	v_lshrrev_b32_e32 v8, 3, v0
	ds_write_b32 v8, v4
.LBB0_6:
	s_or_b64 exec, exec, s[6:7]
	s_waitcnt lgkmcnt(0)
	s_barrier
	s_load_dword s4, s[4:5], 0x2c
	v_mov_b32_e32 v4, 0
	s_waitcnt lgkmcnt(0)
	s_and_b32 s6, s4, 0xffff
	s_add_i32 s4, s6, 31
	s_lshr_b32 s4, s4, 5
	v_cmp_gt_u32_e32 vcc, s4, v0
	s_and_saveexec_b64 s[4:5], vcc
	s_cbranch_execnz .LBB0_14
; %bb.7:
	s_or_b64 exec, exec, s[4:5]
	v_cmp_gt_u32_e32 vcc, 32, v0
	s_and_saveexec_b64 s[4:5], vcc
	s_cbranch_execnz .LBB0_15
.LBB0_8:
	s_or_b64 exec, exec, s[4:5]
	v_cmp_eq_u32_e32 vcc, 0, v0
	s_and_saveexec_b64 s[4:5], vcc
	s_cbranch_execz .LBB0_10
.LBB0_9:
	v_cvt_f32_u32_e32 v1, s14
	s_mov_b32 s7, 0x800000
	s_waitcnt lgkmcnt(0)
	v_div_scale_f32 v2, s[8:9], v1, v1, v4
	v_rcp_f32_e32 v3, v2
	v_div_scale_f32 v5, vcc, v4, v1, v4
	v_fma_f32 v6, -v2, v3, 1.0
	v_fmac_f32_e32 v3, v6, v3
	v_mul_f32_e32 v6, v5, v3
	v_fma_f32 v7, -v2, v6, v5
	v_fmac_f32_e32 v6, v7, v3
	v_fma_f32 v2, -v2, v6, v5
	v_div_fmas_f32 v2, v2, v3, v6
	v_div_fixup_f32 v1, v2, v1, v4
	v_add_f32_e32 v1, s15, v1
	v_mul_f32_e32 v2, 0x4b800000, v1
	v_cmp_gt_f32_e32 vcc, s7, v1
	v_cndmask_b32_e32 v1, v1, v2, vcc
	v_rsq_f32_e32 v1, v1
	v_mul_f32_e32 v2, 0x45800000, v1
	v_cndmask_b32_e32 v1, v1, v2, vcc
	v_mov_b32_e32 v2, 0
	ds_write_b32 v2, v1 offset:128
.LBB0_10:
	s_or_b64 exec, exec, s[4:5]
	s_waitcnt lgkmcnt(0)
	s_barrier
	s_and_saveexec_b64 s[4:5], s[0:1]
	s_cbranch_execz .LBB0_13
; %bb.11:
	v_mov_b32_e32 v1, 0
	ds_read_b32 v2, v1 offset:128
	s_add_u32 s2, s12, s2
	s_addc_u32 s3, s13, s3
	s_mov_b64 s[0:1], 0
	v_mov_b32_e32 v3, s11
	v_mov_b32_e32 v4, s17
	;; [unrolled: 1-line block ×3, first 2 shown]
.LBB0_12:                               ; =>This Inner Loop Header: Depth=1
	v_lshlrev_b64 v[6:7], 2, v[0:1]
	v_add_co_u32_e32 v8, vcc, s10, v6
	v_addc_co_u32_e32 v9, vcc, v3, v7, vcc
	v_add_co_u32_e32 v10, vcc, s16, v6
	v_addc_co_u32_e32 v11, vcc, v4, v7, vcc
	global_load_dword v12, v[10:11], off
	global_load_dword v13, v[8:9], off
	v_add_co_u32_e32 v6, vcc, s2, v6
	v_add_u32_e32 v0, s6, v0
	v_addc_co_u32_e32 v7, vcc, v5, v7, vcc
	v_cmp_le_u32_e32 vcc, s14, v0
	s_or_b64 s[0:1], vcc, s[0:1]
	s_waitcnt vmcnt(1) lgkmcnt(0)
	v_mul_f32_e32 v8, v2, v12
	s_waitcnt vmcnt(0)
	v_mul_f32_e32 v8, v13, v8
	global_store_dword v[6:7], v8, off
	s_andn2_b64 exec, exec, s[0:1]
	s_cbranch_execnz .LBB0_12
.LBB0_13:
	s_endpgm
.LBB0_14:
	v_lshlrev_b32_e32 v4, 2, v7
	ds_read_b32 v4, v4
	s_or_b64 exec, exec, s[4:5]
	v_cmp_gt_u32_e32 vcc, 32, v0
	s_and_saveexec_b64 s[4:5], vcc
	s_cbranch_execz .LBB0_8
.LBB0_15:
	s_waitcnt lgkmcnt(0)
	ds_bpermute_b32 v1, v1, v4
	s_waitcnt lgkmcnt(0)
	v_add_f32_e32 v1, v4, v1
	ds_bpermute_b32 v2, v2, v1
	s_waitcnt lgkmcnt(0)
	v_add_f32_e32 v1, v1, v2
	;; [unrolled: 3-line block ×5, first 2 shown]
	s_or_b64 exec, exec, s[4:5]
	v_cmp_eq_u32_e32 vcc, 0, v0
	s_and_saveexec_b64 s[4:5], vcc
	s_cbranch_execnz .LBB0_9
	s_branch .LBB0_10
	.section	.rodata,"a",@progbits
	.p2align	6, 0x0
	.amdhsa_kernel rms_norm
		.amdhsa_group_segment_fixed_size 132
		.amdhsa_private_segment_fixed_size 0
		.amdhsa_kernarg_size 288
		.amdhsa_user_sgpr_count 6
		.amdhsa_user_sgpr_private_segment_buffer 1
		.amdhsa_user_sgpr_dispatch_ptr 0
		.amdhsa_user_sgpr_queue_ptr 0
		.amdhsa_user_sgpr_kernarg_segment_ptr 1
		.amdhsa_user_sgpr_dispatch_id 0
		.amdhsa_user_sgpr_flat_scratch_init 0
		.amdhsa_user_sgpr_kernarg_preload_length 0
		.amdhsa_user_sgpr_kernarg_preload_offset 0
		.amdhsa_user_sgpr_private_segment_size 0
		.amdhsa_uses_dynamic_stack 0
		.amdhsa_system_sgpr_private_segment_wavefront_offset 0
		.amdhsa_system_sgpr_workgroup_id_x 1
		.amdhsa_system_sgpr_workgroup_id_y 0
		.amdhsa_system_sgpr_workgroup_id_z 0
		.amdhsa_system_sgpr_workgroup_info 0
		.amdhsa_system_vgpr_workitem_id 0
		.amdhsa_next_free_vgpr 14
		.amdhsa_next_free_sgpr 19
		.amdhsa_accum_offset 16
		.amdhsa_reserve_vcc 1
		.amdhsa_reserve_flat_scratch 0
		.amdhsa_float_round_mode_32 0
		.amdhsa_float_round_mode_16_64 0
		.amdhsa_float_denorm_mode_32 3
		.amdhsa_float_denorm_mode_16_64 3
		.amdhsa_dx10_clamp 1
		.amdhsa_ieee_mode 1
		.amdhsa_fp16_overflow 0
		.amdhsa_tg_split 0
		.amdhsa_exception_fp_ieee_invalid_op 0
		.amdhsa_exception_fp_denorm_src 0
		.amdhsa_exception_fp_ieee_div_zero 0
		.amdhsa_exception_fp_ieee_overflow 0
		.amdhsa_exception_fp_ieee_underflow 0
		.amdhsa_exception_fp_ieee_inexact 0
		.amdhsa_exception_int_div_zero 0
	.end_amdhsa_kernel
	.text
.Lfunc_end0:
	.size	rms_norm, .Lfunc_end0-rms_norm
                                        ; -- End function
	.section	.AMDGPU.csdata,"",@progbits
; Kernel info:
; codeLenInByte = 896
; NumSgprs: 23
; NumVgprs: 14
; NumAgprs: 0
; TotalNumVgprs: 14
; ScratchSize: 0
; MemoryBound: 0
; FloatMode: 240
; IeeeMode: 1
; LDSByteSize: 132 bytes/workgroup (compile time only)
; SGPRBlocks: 2
; VGPRBlocks: 1
; NumSGPRsForWavesPerEU: 23
; NumVGPRsForWavesPerEU: 14
; AccumOffset: 16
; Occupancy: 8
; WaveLimiterHint : 0
; COMPUTE_PGM_RSRC2:SCRATCH_EN: 0
; COMPUTE_PGM_RSRC2:USER_SGPR: 6
; COMPUTE_PGM_RSRC2:TRAP_HANDLER: 0
; COMPUTE_PGM_RSRC2:TGID_X_EN: 1
; COMPUTE_PGM_RSRC2:TGID_Y_EN: 0
; COMPUTE_PGM_RSRC2:TGID_Z_EN: 0
; COMPUTE_PGM_RSRC2:TIDIG_COMP_CNT: 0
; COMPUTE_PGM_RSRC3_GFX90A:ACCUM_OFFSET: 3
; COMPUTE_PGM_RSRC3_GFX90A:TG_SPLIT: 0
	.text
	.protected	rms_norm_residual       ; -- Begin function rms_norm_residual
	.globl	rms_norm_residual
	.p2align	8
	.type	rms_norm_residual,@function
rms_norm_residual:                      ; @rms_norm_residual
; %bb.0:
	s_load_dwordx8 s[8:15], s[4:5], 0x0
	v_mov_b32_e32 v4, 0
	s_waitcnt lgkmcnt(0)
	s_mul_hi_u32 s3, s14, s6
	s_mul_i32 s2, s14, s6
	s_lshl_b64 s[2:3], s[2:3], 2
	s_add_u32 s16, s8, s2
	v_cmp_gt_u32_e64 s[0:1], s14, v0
	s_addc_u32 s17, s9, s3
	s_and_saveexec_b64 s[6:7], s[0:1]
	s_cbranch_execz .LBB1_4
; %bb.1:
	s_load_dword s18, s[4:5], 0x2c
	s_mov_b64 s[8:9], 0
	v_mov_b32_e32 v3, 0
	v_mov_b32_e32 v1, s17
	;; [unrolled: 1-line block ×3, first 2 shown]
	s_waitcnt lgkmcnt(0)
	s_and_b32 s18, s18, 0xffff
	v_mov_b32_e32 v2, v0
.LBB1_2:                                ; =>This Inner Loop Header: Depth=1
	v_lshlrev_b64 v[6:7], 2, v[2:3]
	v_add_co_u32_e32 v6, vcc, s16, v6
	v_addc_co_u32_e32 v7, vcc, v1, v7, vcc
	global_load_dword v5, v[6:7], off
	v_add_u32_e32 v2, s18, v2
	v_cmp_le_u32_e32 vcc, s14, v2
	s_or_b64 s[8:9], vcc, s[8:9]
	s_waitcnt vmcnt(0)
	v_fmac_f32_e32 v4, v5, v5
	s_andn2_b64 exec, exec, s[8:9]
	s_cbranch_execnz .LBB1_2
; %bb.3:
	s_or_b64 exec, exec, s[8:9]
.LBB1_4:
	s_or_b64 exec, exec, s[6:7]
	v_mbcnt_lo_u32_b32 v1, -1, 0
	v_mbcnt_hi_u32_b32 v6, -1, v1
	v_and_b32_e32 v7, 63, v6
	v_cmp_gt_u32_e32 vcc, 48, v7
	v_cndmask_b32_e64 v1, 0, 1, vcc
	v_lshlrev_b32_e32 v1, 4, v1
	v_add_lshl_u32 v1, v1, v6, 2
	ds_bpermute_b32 v2, v1, v4
	v_cmp_gt_u32_e32 vcc, 56, v7
	v_cndmask_b32_e64 v3, 0, 1, vcc
	v_lshlrev_b32_e32 v3, 3, v3
	v_cmp_gt_u32_e32 vcc, 60, v7
	s_waitcnt lgkmcnt(0)
	v_add_f32_e32 v4, v4, v2
	v_add_lshl_u32 v2, v3, v6, 2
	ds_bpermute_b32 v3, v2, v4
	v_cndmask_b32_e64 v5, 0, 1, vcc
	v_lshlrev_b32_e32 v5, 2, v5
	v_cmp_gt_u32_e32 vcc, 62, v7
	v_cndmask_b32_e64 v8, 0, 1, vcc
	s_waitcnt lgkmcnt(0)
	v_add_f32_e32 v4, v4, v3
	v_add_lshl_u32 v3, v5, v6, 2
	ds_bpermute_b32 v5, v3, v4
	v_lshlrev_b32_e32 v8, 1, v8
	v_cmp_ne_u32_e32 vcc, 63, v7
	v_and_b32_e32 v7, 31, v0
	s_waitcnt lgkmcnt(0)
	v_add_f32_e32 v4, v4, v5
	v_add_lshl_u32 v5, v8, v6, 2
	ds_bpermute_b32 v8, v5, v4
	v_addc_co_u32_e32 v6, vcc, 0, v6, vcc
	v_lshlrev_b32_e32 v6, 2, v6
	v_cmp_eq_u32_e32 vcc, 0, v7
	s_waitcnt lgkmcnt(0)
	v_add_f32_e32 v4, v4, v8
	ds_bpermute_b32 v8, v6, v4
	s_and_saveexec_b64 s[6:7], vcc
	s_cbranch_execz .LBB1_6
; %bb.5:
	s_waitcnt lgkmcnt(0)
	v_add_f32_e32 v4, v4, v8
	v_lshrrev_b32_e32 v8, 3, v0
	ds_write_b32 v8, v4
.LBB1_6:
	s_or_b64 exec, exec, s[6:7]
	s_waitcnt lgkmcnt(0)
	s_barrier
	s_load_dword s4, s[4:5], 0x2c
	v_mov_b32_e32 v4, 0
	s_waitcnt lgkmcnt(0)
	s_and_b32 s6, s4, 0xffff
	s_add_i32 s4, s6, 31
	s_lshr_b32 s4, s4, 5
	v_cmp_gt_u32_e32 vcc, s4, v0
	s_and_saveexec_b64 s[4:5], vcc
	s_cbranch_execnz .LBB1_14
; %bb.7:
	s_or_b64 exec, exec, s[4:5]
	v_cmp_gt_u32_e32 vcc, 32, v0
	s_and_saveexec_b64 s[4:5], vcc
	s_cbranch_execnz .LBB1_15
.LBB1_8:
	s_or_b64 exec, exec, s[4:5]
	v_cmp_eq_u32_e32 vcc, 0, v0
	s_and_saveexec_b64 s[4:5], vcc
	s_cbranch_execz .LBB1_10
.LBB1_9:
	v_cvt_f32_u32_e32 v1, s14
	s_mov_b32 s7, 0x800000
	s_waitcnt lgkmcnt(0)
	v_div_scale_f32 v2, s[8:9], v1, v1, v4
	v_rcp_f32_e32 v3, v2
	v_div_scale_f32 v5, vcc, v4, v1, v4
	v_fma_f32 v6, -v2, v3, 1.0
	v_fmac_f32_e32 v3, v6, v3
	v_mul_f32_e32 v6, v5, v3
	v_fma_f32 v7, -v2, v6, v5
	v_fmac_f32_e32 v6, v7, v3
	v_fma_f32 v2, -v2, v6, v5
	v_div_fmas_f32 v2, v2, v3, v6
	v_div_fixup_f32 v1, v2, v1, v4
	v_add_f32_e32 v1, s15, v1
	v_mul_f32_e32 v2, 0x4b800000, v1
	v_cmp_gt_f32_e32 vcc, s7, v1
	v_cndmask_b32_e32 v1, v1, v2, vcc
	v_rsq_f32_e32 v1, v1
	v_mul_f32_e32 v2, 0x45800000, v1
	v_cndmask_b32_e32 v1, v1, v2, vcc
	v_mov_b32_e32 v2, 0
	ds_write_b32 v2, v1 offset:128
.LBB1_10:
	s_or_b64 exec, exec, s[4:5]
	s_waitcnt lgkmcnt(0)
	s_barrier
	s_and_saveexec_b64 s[4:5], s[0:1]
	s_cbranch_execz .LBB1_13
; %bb.11:
	v_mov_b32_e32 v1, 0
	ds_read_b32 v2, v1 offset:128
	s_add_u32 s2, s12, s2
	s_addc_u32 s3, s13, s3
	s_mov_b64 s[0:1], 0
	v_mov_b32_e32 v3, s11
	v_mov_b32_e32 v4, s17
	;; [unrolled: 1-line block ×3, first 2 shown]
.LBB1_12:                               ; =>This Inner Loop Header: Depth=1
	v_lshlrev_b64 v[6:7], 2, v[0:1]
	v_add_co_u32_e32 v8, vcc, s10, v6
	v_addc_co_u32_e32 v9, vcc, v3, v7, vcc
	v_add_co_u32_e32 v10, vcc, s16, v6
	v_addc_co_u32_e32 v11, vcc, v4, v7, vcc
	v_add_co_u32_e32 v6, vcc, s2, v6
	v_addc_co_u32_e32 v7, vcc, v5, v7, vcc
	global_load_dword v12, v[8:9], off
	global_load_dword v13, v[10:11], off
	;; [unrolled: 1-line block ×3, first 2 shown]
	v_add_u32_e32 v0, s6, v0
	v_cmp_le_u32_e32 vcc, s14, v0
	s_or_b64 s[0:1], vcc, s[0:1]
	s_waitcnt vmcnt(1) lgkmcnt(0)
	v_mul_f32_e32 v8, v2, v13
	s_waitcnt vmcnt(0)
	v_fmac_f32_e32 v14, v12, v8
	global_store_dword v[6:7], v14, off
	s_andn2_b64 exec, exec, s[0:1]
	s_cbranch_execnz .LBB1_12
.LBB1_13:
	s_endpgm
.LBB1_14:
	v_lshlrev_b32_e32 v4, 2, v7
	ds_read_b32 v4, v4
	s_or_b64 exec, exec, s[4:5]
	v_cmp_gt_u32_e32 vcc, 32, v0
	s_and_saveexec_b64 s[4:5], vcc
	s_cbranch_execz .LBB1_8
.LBB1_15:
	s_waitcnt lgkmcnt(0)
	ds_bpermute_b32 v1, v1, v4
	s_waitcnt lgkmcnt(0)
	v_add_f32_e32 v1, v4, v1
	ds_bpermute_b32 v2, v2, v1
	s_waitcnt lgkmcnt(0)
	v_add_f32_e32 v1, v1, v2
	;; [unrolled: 3-line block ×5, first 2 shown]
	s_or_b64 exec, exec, s[4:5]
	v_cmp_eq_u32_e32 vcc, 0, v0
	s_and_saveexec_b64 s[4:5], vcc
	s_cbranch_execnz .LBB1_9
	s_branch .LBB1_10
	.section	.rodata,"a",@progbits
	.p2align	6, 0x0
	.amdhsa_kernel rms_norm_residual
		.amdhsa_group_segment_fixed_size 132
		.amdhsa_private_segment_fixed_size 0
		.amdhsa_kernarg_size 288
		.amdhsa_user_sgpr_count 6
		.amdhsa_user_sgpr_private_segment_buffer 1
		.amdhsa_user_sgpr_dispatch_ptr 0
		.amdhsa_user_sgpr_queue_ptr 0
		.amdhsa_user_sgpr_kernarg_segment_ptr 1
		.amdhsa_user_sgpr_dispatch_id 0
		.amdhsa_user_sgpr_flat_scratch_init 0
		.amdhsa_user_sgpr_kernarg_preload_length 0
		.amdhsa_user_sgpr_kernarg_preload_offset 0
		.amdhsa_user_sgpr_private_segment_size 0
		.amdhsa_uses_dynamic_stack 0
		.amdhsa_system_sgpr_private_segment_wavefront_offset 0
		.amdhsa_system_sgpr_workgroup_id_x 1
		.amdhsa_system_sgpr_workgroup_id_y 0
		.amdhsa_system_sgpr_workgroup_id_z 0
		.amdhsa_system_sgpr_workgroup_info 0
		.amdhsa_system_vgpr_workitem_id 0
		.amdhsa_next_free_vgpr 15
		.amdhsa_next_free_sgpr 19
		.amdhsa_accum_offset 16
		.amdhsa_reserve_vcc 1
		.amdhsa_reserve_flat_scratch 0
		.amdhsa_float_round_mode_32 0
		.amdhsa_float_round_mode_16_64 0
		.amdhsa_float_denorm_mode_32 3
		.amdhsa_float_denorm_mode_16_64 3
		.amdhsa_dx10_clamp 1
		.amdhsa_ieee_mode 1
		.amdhsa_fp16_overflow 0
		.amdhsa_tg_split 0
		.amdhsa_exception_fp_ieee_invalid_op 0
		.amdhsa_exception_fp_denorm_src 0
		.amdhsa_exception_fp_ieee_div_zero 0
		.amdhsa_exception_fp_ieee_overflow 0
		.amdhsa_exception_fp_ieee_underflow 0
		.amdhsa_exception_fp_ieee_inexact 0
		.amdhsa_exception_int_div_zero 0
	.end_amdhsa_kernel
	.text
.Lfunc_end1:
	.size	rms_norm_residual, .Lfunc_end1-rms_norm_residual
                                        ; -- End function
	.section	.AMDGPU.csdata,"",@progbits
; Kernel info:
; codeLenInByte = 904
; NumSgprs: 23
; NumVgprs: 15
; NumAgprs: 0
; TotalNumVgprs: 15
; ScratchSize: 0
; MemoryBound: 0
; FloatMode: 240
; IeeeMode: 1
; LDSByteSize: 132 bytes/workgroup (compile time only)
; SGPRBlocks: 2
; VGPRBlocks: 1
; NumSGPRsForWavesPerEU: 23
; NumVGPRsForWavesPerEU: 15
; AccumOffset: 16
; Occupancy: 8
; WaveLimiterHint : 0
; COMPUTE_PGM_RSRC2:SCRATCH_EN: 0
; COMPUTE_PGM_RSRC2:USER_SGPR: 6
; COMPUTE_PGM_RSRC2:TRAP_HANDLER: 0
; COMPUTE_PGM_RSRC2:TGID_X_EN: 1
; COMPUTE_PGM_RSRC2:TGID_Y_EN: 0
; COMPUTE_PGM_RSRC2:TGID_Z_EN: 0
; COMPUTE_PGM_RSRC2:TIDIG_COMP_CNT: 0
; COMPUTE_PGM_RSRC3_GFX90A:ACCUM_OFFSET: 3
; COMPUTE_PGM_RSRC3_GFX90A:TG_SPLIT: 0
	.text
	.protected	rms_norm_residual_scale ; -- Begin function rms_norm_residual_scale
	.globl	rms_norm_residual_scale
	.p2align	8
	.type	rms_norm_residual_scale,@function
rms_norm_residual_scale:                ; @rms_norm_residual_scale
; %bb.0:
	s_load_dwordx2 s[2:3], s[4:5], 0x20
	s_load_dwordx8 s[8:15], s[4:5], 0x0
	v_mov_b32_e32 v4, 0
	s_waitcnt lgkmcnt(0)
	s_mul_hi_u32 s1, s2, s6
	s_mul_i32 s0, s2, s6
	s_lshl_b64 s[6:7], s[0:1], 2
	s_add_u32 s18, s8, s6
	s_addc_u32 s19, s9, s7
	v_cmp_gt_u32_e64 s[0:1], s2, v0
	s_and_saveexec_b64 s[8:9], s[0:1]
	s_cbranch_execz .LBB2_4
; %bb.1:
	s_load_dword s20, s[4:5], 0x34
	s_mov_b64 s[16:17], 0
	v_mov_b32_e32 v3, 0
	v_mov_b32_e32 v1, s19
	v_mov_b32_e32 v4, 0
	s_waitcnt lgkmcnt(0)
	s_and_b32 s20, s20, 0xffff
	v_mov_b32_e32 v2, v0
.LBB2_2:                                ; =>This Inner Loop Header: Depth=1
	v_lshlrev_b64 v[6:7], 2, v[2:3]
	v_add_co_u32_e32 v6, vcc, s18, v6
	v_addc_co_u32_e32 v7, vcc, v1, v7, vcc
	global_load_dword v5, v[6:7], off
	v_add_u32_e32 v2, s20, v2
	v_cmp_le_u32_e32 vcc, s2, v2
	s_or_b64 s[16:17], vcc, s[16:17]
	s_waitcnt vmcnt(0)
	v_fmac_f32_e32 v4, v5, v5
	s_andn2_b64 exec, exec, s[16:17]
	s_cbranch_execnz .LBB2_2
; %bb.3:
	s_or_b64 exec, exec, s[16:17]
.LBB2_4:
	s_or_b64 exec, exec, s[8:9]
	v_mbcnt_lo_u32_b32 v1, -1, 0
	v_mbcnt_hi_u32_b32 v6, -1, v1
	v_and_b32_e32 v7, 63, v6
	v_cmp_gt_u32_e32 vcc, 48, v7
	v_cndmask_b32_e64 v1, 0, 1, vcc
	v_lshlrev_b32_e32 v1, 4, v1
	v_add_lshl_u32 v1, v1, v6, 2
	ds_bpermute_b32 v2, v1, v4
	v_cmp_gt_u32_e32 vcc, 56, v7
	v_cndmask_b32_e64 v3, 0, 1, vcc
	v_lshlrev_b32_e32 v3, 3, v3
	v_cmp_gt_u32_e32 vcc, 60, v7
	s_waitcnt lgkmcnt(0)
	v_add_f32_e32 v4, v4, v2
	v_add_lshl_u32 v2, v3, v6, 2
	ds_bpermute_b32 v3, v2, v4
	v_cndmask_b32_e64 v5, 0, 1, vcc
	v_lshlrev_b32_e32 v5, 2, v5
	v_cmp_gt_u32_e32 vcc, 62, v7
	v_cndmask_b32_e64 v8, 0, 1, vcc
	s_waitcnt lgkmcnt(0)
	v_add_f32_e32 v4, v4, v3
	v_add_lshl_u32 v3, v5, v6, 2
	ds_bpermute_b32 v5, v3, v4
	v_lshlrev_b32_e32 v8, 1, v8
	v_cmp_ne_u32_e32 vcc, 63, v7
	v_and_b32_e32 v7, 31, v0
	s_waitcnt lgkmcnt(0)
	v_add_f32_e32 v4, v4, v5
	v_add_lshl_u32 v5, v8, v6, 2
	ds_bpermute_b32 v8, v5, v4
	v_addc_co_u32_e32 v6, vcc, 0, v6, vcc
	v_lshlrev_b32_e32 v6, 2, v6
	v_cmp_eq_u32_e32 vcc, 0, v7
	s_waitcnt lgkmcnt(0)
	v_add_f32_e32 v4, v4, v8
	ds_bpermute_b32 v8, v6, v4
	s_and_saveexec_b64 s[8:9], vcc
	s_cbranch_execz .LBB2_6
; %bb.5:
	s_waitcnt lgkmcnt(0)
	v_add_f32_e32 v4, v4, v8
	v_lshrrev_b32_e32 v8, 3, v0
	ds_write_b32 v8, v4
.LBB2_6:
	s_or_b64 exec, exec, s[8:9]
	s_waitcnt lgkmcnt(0)
	s_barrier
	s_load_dword s4, s[4:5], 0x34
	v_mov_b32_e32 v4, 0
	s_waitcnt lgkmcnt(0)
	s_and_b32 s8, s4, 0xffff
	s_add_i32 s4, s8, 31
	s_lshr_b32 s4, s4, 5
	v_cmp_gt_u32_e32 vcc, s4, v0
	s_and_saveexec_b64 s[4:5], vcc
	s_cbranch_execnz .LBB2_14
; %bb.7:
	s_or_b64 exec, exec, s[4:5]
	v_cmp_gt_u32_e32 vcc, 32, v0
	s_and_saveexec_b64 s[4:5], vcc
	s_cbranch_execnz .LBB2_15
.LBB2_8:
	s_or_b64 exec, exec, s[4:5]
	v_cmp_eq_u32_e32 vcc, 0, v0
	s_and_saveexec_b64 s[4:5], vcc
	s_cbranch_execz .LBB2_10
.LBB2_9:
	v_cvt_f32_u32_e32 v1, s2
	s_mov_b32 s9, 0x800000
	s_waitcnt lgkmcnt(0)
	v_div_scale_f32 v2, s[16:17], v1, v1, v4
	v_rcp_f32_e32 v3, v2
	v_div_scale_f32 v5, vcc, v4, v1, v4
	v_fma_f32 v6, -v2, v3, 1.0
	v_fmac_f32_e32 v3, v6, v3
	v_mul_f32_e32 v6, v5, v3
	v_fma_f32 v7, -v2, v6, v5
	v_fmac_f32_e32 v6, v7, v3
	v_fma_f32 v2, -v2, v6, v5
	v_div_fmas_f32 v2, v2, v3, v6
	v_div_fixup_f32 v1, v2, v1, v4
	v_add_f32_e32 v1, s3, v1
	v_mul_f32_e32 v2, 0x4b800000, v1
	v_cmp_gt_f32_e32 vcc, s9, v1
	v_cndmask_b32_e32 v1, v1, v2, vcc
	v_rsq_f32_e32 v1, v1
	v_mul_f32_e32 v2, 0x45800000, v1
	v_cndmask_b32_e32 v1, v1, v2, vcc
	v_mov_b32_e32 v2, 0
	ds_write_b32 v2, v1 offset:128
.LBB2_10:
	s_or_b64 exec, exec, s[4:5]
	s_waitcnt lgkmcnt(0)
	s_barrier
	s_and_saveexec_b64 s[4:5], s[0:1]
	s_cbranch_execz .LBB2_13
; %bb.11:
	v_mov_b32_e32 v1, 0
	ds_read_b32 v2, v1 offset:128
	s_load_dword s3, s[14:15], 0x0
	s_add_u32 s4, s12, s6
	s_addc_u32 s5, s13, s7
	s_mov_b64 s[0:1], 0
	v_mov_b32_e32 v3, s5
	v_mov_b32_e32 v4, s11
	;; [unrolled: 1-line block ×3, first 2 shown]
.LBB2_12:                               ; =>This Inner Loop Header: Depth=1
	v_lshlrev_b64 v[6:7], 2, v[0:1]
	v_add_co_u32_e32 v8, vcc, s4, v6
	v_addc_co_u32_e32 v9, vcc, v3, v7, vcc
	v_add_co_u32_e32 v10, vcc, s10, v6
	v_addc_co_u32_e32 v11, vcc, v4, v7, vcc
	;; [unrolled: 2-line block ×3, first 2 shown]
	global_load_dword v12, v[8:9], off
	global_load_dword v13, v[6:7], off
	;; [unrolled: 1-line block ×3, first 2 shown]
	v_add_u32_e32 v0, s8, v0
	v_cmp_le_u32_e32 vcc, s2, v0
	s_or_b64 s[0:1], vcc, s[0:1]
	s_waitcnt vmcnt(1) lgkmcnt(0)
	v_mul_f32_e32 v6, v2, v13
	s_waitcnt vmcnt(0)
	v_fmac_f32_e32 v12, v14, v6
	v_mul_f32_e32 v6, s3, v12
	global_store_dword v[8:9], v6, off
	s_andn2_b64 exec, exec, s[0:1]
	s_cbranch_execnz .LBB2_12
.LBB2_13:
	s_endpgm
.LBB2_14:
	v_lshlrev_b32_e32 v4, 2, v7
	ds_read_b32 v4, v4
	s_or_b64 exec, exec, s[4:5]
	v_cmp_gt_u32_e32 vcc, 32, v0
	s_and_saveexec_b64 s[4:5], vcc
	s_cbranch_execz .LBB2_8
.LBB2_15:
	s_waitcnt lgkmcnt(0)
	ds_bpermute_b32 v1, v1, v4
	s_waitcnt lgkmcnt(0)
	v_add_f32_e32 v1, v4, v1
	ds_bpermute_b32 v2, v2, v1
	s_waitcnt lgkmcnt(0)
	v_add_f32_e32 v1, v1, v2
	;; [unrolled: 3-line block ×5, first 2 shown]
	s_or_b64 exec, exec, s[4:5]
	v_cmp_eq_u32_e32 vcc, 0, v0
	s_and_saveexec_b64 s[4:5], vcc
	s_cbranch_execnz .LBB2_9
	s_branch .LBB2_10
	.section	.rodata,"a",@progbits
	.p2align	6, 0x0
	.amdhsa_kernel rms_norm_residual_scale
		.amdhsa_group_segment_fixed_size 132
		.amdhsa_private_segment_fixed_size 0
		.amdhsa_kernarg_size 296
		.amdhsa_user_sgpr_count 6
		.amdhsa_user_sgpr_private_segment_buffer 1
		.amdhsa_user_sgpr_dispatch_ptr 0
		.amdhsa_user_sgpr_queue_ptr 0
		.amdhsa_user_sgpr_kernarg_segment_ptr 1
		.amdhsa_user_sgpr_dispatch_id 0
		.amdhsa_user_sgpr_flat_scratch_init 0
		.amdhsa_user_sgpr_kernarg_preload_length 0
		.amdhsa_user_sgpr_kernarg_preload_offset 0
		.amdhsa_user_sgpr_private_segment_size 0
		.amdhsa_uses_dynamic_stack 0
		.amdhsa_system_sgpr_private_segment_wavefront_offset 0
		.amdhsa_system_sgpr_workgroup_id_x 1
		.amdhsa_system_sgpr_workgroup_id_y 0
		.amdhsa_system_sgpr_workgroup_id_z 0
		.amdhsa_system_sgpr_workgroup_info 0
		.amdhsa_system_vgpr_workitem_id 0
		.amdhsa_next_free_vgpr 15
		.amdhsa_next_free_sgpr 21
		.amdhsa_accum_offset 16
		.amdhsa_reserve_vcc 1
		.amdhsa_reserve_flat_scratch 0
		.amdhsa_float_round_mode_32 0
		.amdhsa_float_round_mode_16_64 0
		.amdhsa_float_denorm_mode_32 3
		.amdhsa_float_denorm_mode_16_64 3
		.amdhsa_dx10_clamp 1
		.amdhsa_ieee_mode 1
		.amdhsa_fp16_overflow 0
		.amdhsa_tg_split 0
		.amdhsa_exception_fp_ieee_invalid_op 0
		.amdhsa_exception_fp_denorm_src 0
		.amdhsa_exception_fp_ieee_div_zero 0
		.amdhsa_exception_fp_ieee_overflow 0
		.amdhsa_exception_fp_ieee_underflow 0
		.amdhsa_exception_fp_ieee_inexact 0
		.amdhsa_exception_int_div_zero 0
	.end_amdhsa_kernel
	.text
.Lfunc_end2:
	.size	rms_norm_residual_scale, .Lfunc_end2-rms_norm_residual_scale
                                        ; -- End function
	.section	.AMDGPU.csdata,"",@progbits
; Kernel info:
; codeLenInByte = 924
; NumSgprs: 25
; NumVgprs: 15
; NumAgprs: 0
; TotalNumVgprs: 15
; ScratchSize: 0
; MemoryBound: 0
; FloatMode: 240
; IeeeMode: 1
; LDSByteSize: 132 bytes/workgroup (compile time only)
; SGPRBlocks: 3
; VGPRBlocks: 1
; NumSGPRsForWavesPerEU: 25
; NumVGPRsForWavesPerEU: 15
; AccumOffset: 16
; Occupancy: 8
; WaveLimiterHint : 0
; COMPUTE_PGM_RSRC2:SCRATCH_EN: 0
; COMPUTE_PGM_RSRC2:USER_SGPR: 6
; COMPUTE_PGM_RSRC2:TRAP_HANDLER: 0
; COMPUTE_PGM_RSRC2:TGID_X_EN: 1
; COMPUTE_PGM_RSRC2:TGID_Y_EN: 0
; COMPUTE_PGM_RSRC2:TGID_Z_EN: 0
; COMPUTE_PGM_RSRC2:TIDIG_COMP_CNT: 0
; COMPUTE_PGM_RSRC3_GFX90A:ACCUM_OFFSET: 3
; COMPUTE_PGM_RSRC3_GFX90A:TG_SPLIT: 0
	.text
	.protected	rms_norm_rope           ; -- Begin function rms_norm_rope
	.globl	rms_norm_rope
	.p2align	8
	.type	rms_norm_rope,@function
rms_norm_rope:                          ; @rms_norm_rope
; %bb.0:
	s_load_dwordx4 s[16:19], s[4:5], 0x20
	s_load_dwordx8 s[8:15], s[4:5], 0x0
	s_load_dword s20, s[4:5], 0x30
	v_mov_b32_e32 v4, 0
	s_waitcnt lgkmcnt(0)
	s_mul_hi_u32 s1, s16, s6
	s_mul_i32 s0, s16, s6
	s_lshl_b64 s[2:3], s[0:1], 2
	s_add_u32 s21, s8, s2
	s_addc_u32 s23, s9, s3
	v_cmp_gt_u32_e64 s[0:1], s16, v0
	s_and_saveexec_b64 s[6:7], s[0:1]
	s_cbranch_execz .LBB3_4
; %bb.1:
	s_load_dword s22, s[4:5], 0x44
	s_mov_b64 s[8:9], 0
	v_mov_b32_e32 v3, 0
	v_mov_b32_e32 v1, s23
	;; [unrolled: 1-line block ×3, first 2 shown]
	s_waitcnt lgkmcnt(0)
	s_and_b32 s22, s22, 0xffff
	v_mov_b32_e32 v2, v0
.LBB3_2:                                ; =>This Inner Loop Header: Depth=1
	v_lshlrev_b64 v[6:7], 2, v[2:3]
	v_add_co_u32_e32 v6, vcc, s21, v6
	v_addc_co_u32_e32 v7, vcc, v1, v7, vcc
	global_load_dword v5, v[6:7], off
	v_add_u32_e32 v2, s22, v2
	v_cmp_le_u32_e32 vcc, s16, v2
	s_or_b64 s[8:9], vcc, s[8:9]
	s_waitcnt vmcnt(0)
	v_fmac_f32_e32 v4, v5, v5
	s_andn2_b64 exec, exec, s[8:9]
	s_cbranch_execnz .LBB3_2
; %bb.3:
	s_or_b64 exec, exec, s[8:9]
.LBB3_4:
	s_or_b64 exec, exec, s[6:7]
	v_mbcnt_lo_u32_b32 v1, -1, 0
	v_mbcnt_hi_u32_b32 v6, -1, v1
	v_and_b32_e32 v7, 63, v6
	v_cmp_gt_u32_e32 vcc, 48, v7
	v_cndmask_b32_e64 v1, 0, 1, vcc
	v_lshlrev_b32_e32 v1, 4, v1
	v_add_lshl_u32 v1, v1, v6, 2
	ds_bpermute_b32 v2, v1, v4
	v_cmp_gt_u32_e32 vcc, 56, v7
	v_cndmask_b32_e64 v3, 0, 1, vcc
	v_lshlrev_b32_e32 v3, 3, v3
	v_cmp_gt_u32_e32 vcc, 60, v7
	s_waitcnt lgkmcnt(0)
	v_add_f32_e32 v4, v4, v2
	v_add_lshl_u32 v2, v3, v6, 2
	ds_bpermute_b32 v3, v2, v4
	v_cndmask_b32_e64 v5, 0, 1, vcc
	v_lshlrev_b32_e32 v5, 2, v5
	v_cmp_gt_u32_e32 vcc, 62, v7
	v_cndmask_b32_e64 v8, 0, 1, vcc
	s_waitcnt lgkmcnt(0)
	v_add_f32_e32 v4, v4, v3
	v_add_lshl_u32 v3, v5, v6, 2
	ds_bpermute_b32 v5, v3, v4
	v_lshlrev_b32_e32 v8, 1, v8
	v_cmp_ne_u32_e32 vcc, 63, v7
	v_and_b32_e32 v7, 31, v0
	s_waitcnt lgkmcnt(0)
	v_add_f32_e32 v4, v4, v5
	v_add_lshl_u32 v5, v8, v6, 2
	ds_bpermute_b32 v8, v5, v4
	v_addc_co_u32_e32 v6, vcc, 0, v6, vcc
	v_lshlrev_b32_e32 v6, 2, v6
	v_cmp_eq_u32_e32 vcc, 0, v7
	s_waitcnt lgkmcnt(0)
	v_add_f32_e32 v4, v4, v8
	ds_bpermute_b32 v8, v6, v4
	s_and_saveexec_b64 s[6:7], vcc
	s_cbranch_execz .LBB3_6
; %bb.5:
	s_waitcnt lgkmcnt(0)
	v_add_f32_e32 v4, v4, v8
	v_lshrrev_b32_e32 v8, 3, v0
	ds_write_b32 v8, v4
.LBB3_6:
	s_or_b64 exec, exec, s[6:7]
	s_waitcnt lgkmcnt(0)
	s_barrier
	s_load_dword s4, s[4:5], 0x44
	v_mov_b32_e32 v4, 0
	s_waitcnt lgkmcnt(0)
	s_and_b32 s22, s4, 0xffff
	s_add_i32 s4, s22, 31
	s_lshr_b32 s4, s4, 5
	v_cmp_gt_u32_e32 vcc, s4, v0
	s_and_saveexec_b64 s[4:5], vcc
	s_cbranch_execz .LBB3_24
; %bb.7:
	v_lshlrev_b32_e32 v4, 2, v7
	ds_read_b32 v4, v4
	s_or_b64 exec, exec, s[4:5]
	v_cmp_gt_u32_e32 vcc, 32, v0
	s_and_saveexec_b64 s[4:5], vcc
	s_cbranch_execnz .LBB3_25
.LBB3_8:
	s_or_b64 exec, exec, s[4:5]
	v_cmp_eq_u32_e32 vcc, 0, v0
	s_and_saveexec_b64 s[4:5], vcc
	s_cbranch_execz .LBB3_10
.LBB3_9:
	v_cvt_f32_u32_e32 v1, s16
	s_waitcnt lgkmcnt(0)
	v_div_scale_f32 v2, s[6:7], v1, v1, v4
	v_rcp_f32_e32 v3, v2
	v_div_scale_f32 v5, vcc, v4, v1, v4
	s_mov_b32 s6, 0x800000
	v_fma_f32 v6, -v2, v3, 1.0
	v_fmac_f32_e32 v3, v6, v3
	v_mul_f32_e32 v6, v5, v3
	v_fma_f32 v7, -v2, v6, v5
	v_fmac_f32_e32 v6, v7, v3
	v_fma_f32 v2, -v2, v6, v5
	v_div_fmas_f32 v2, v2, v3, v6
	v_div_fixup_f32 v1, v2, v1, v4
	v_add_f32_e32 v1, s17, v1
	v_mul_f32_e32 v2, 0x4b800000, v1
	v_cmp_gt_f32_e32 vcc, s6, v1
	v_cndmask_b32_e32 v1, v1, v2, vcc
	v_rsq_f32_e32 v1, v1
	v_mul_f32_e32 v2, 0x45800000, v1
	v_cndmask_b32_e32 v1, v1, v2, vcc
	v_mov_b32_e32 v2, 0
	ds_write_b32 v2, v1 offset:128
.LBB3_10:
	s_or_b64 exec, exec, s[4:5]
	s_waitcnt lgkmcnt(0)
	s_barrier
	s_and_saveexec_b64 s[4:5], s[0:1]
	s_cbranch_execz .LBB3_13
; %bb.11:
	v_mov_b32_e32 v3, 0
	ds_read_b32 v1, v3 offset:128
	v_mov_b32_e32 v2, 0x84
	v_lshl_add_u32 v4, v0, 2, v2
	s_lshl_b32 s6, s22, 2
	s_mov_b64 s[0:1], 0
	v_mov_b32_e32 v5, s11
	v_mov_b32_e32 v6, s23
	;; [unrolled: 1-line block ×3, first 2 shown]
.LBB3_12:                               ; =>This Inner Loop Header: Depth=1
	v_lshlrev_b64 v[8:9], 2, v[2:3]
	v_add_co_u32_e32 v10, vcc, s10, v8
	v_addc_co_u32_e32 v11, vcc, v5, v9, vcc
	v_add_co_u32_e32 v8, vcc, s21, v8
	v_addc_co_u32_e32 v9, vcc, v6, v9, vcc
	global_load_dword v7, v[8:9], off
	global_load_dword v12, v[10:11], off
	v_add_u32_e32 v2, s22, v2
	v_cmp_le_u32_e32 vcc, s16, v2
	s_or_b64 s[0:1], vcc, s[0:1]
	s_waitcnt vmcnt(1) lgkmcnt(0)
	v_mul_f32_e32 v7, v1, v7
	s_waitcnt vmcnt(0)
	v_mul_f32_e32 v7, v12, v7
	ds_write_b32 v4, v7
	v_add_u32_e32 v4, s6, v4
	s_andn2_b64 exec, exec, s[0:1]
	s_cbranch_execnz .LBB3_12
.LBB3_13:
	s_or_b64 exec, exec, s[4:5]
	s_mov_b32 s21, 0
	s_lshl_b64 s[0:1], s[20:21], 2
	s_add_u32 s0, s14, s0
	s_addc_u32 s1, s15, s1
	s_add_u32 s17, s0, s2
	s_addc_u32 s20, s1, s3
	s_lshr_b32 s23, s18, 1
	v_cmp_gt_u32_e32 vcc, s23, v0
	s_waitcnt lgkmcnt(0)
	s_barrier
	s_and_saveexec_b64 s[6:7], vcc
	s_cbranch_execz .LBB3_26
; %bb.14:
	v_cvt_f32_u32_e32 v1, s19
	v_lshlrev_b32_e32 v2, 2, v0
	v_mov_b32_e32 v3, 0
	s_lshl_b32 s19, s22, 2
	s_lshl_b32 s24, s23, 2
	v_add_u32_e32 v6, 0x84, v2
	s_mov_b64 s[8:9], 0
	v_mov_b32_e32 v7, s13
	s_brev_b32 s13, 18
	s_mov_b32 s25, 0xfe5163ab
	s_mov_b32 s26, 0x3c439041
	;; [unrolled: 1-line block ×10, first 2 shown]
	v_mov_b32_e32 v8, 0xbe2aaa9d
	v_mov_b32_e32 v9, 0x3d2aabf7
	;; [unrolled: 1-line block ×3, first 2 shown]
	s_movk_i32 s36, 0x1f8
	v_not_b32_e32 v11, 63
	v_not_b32_e32 v12, 31
	v_mov_b32_e32 v13, 0x7fc00000
	v_pk_mov_b32 v[4:5], v[2:3], v[2:3] op_sel:[0,1]
	v_mov_b32_e32 v14, v0
	s_branch .LBB3_16
.LBB3_15:                               ;   in Loop: Header=BB3_16 Depth=1
	s_or_b64 exec, exec, s[0:1]
	v_mul_f32_e32 v2, v20, v20
	v_mov_b32_e32 v21, 0x3c0881c4
	v_fmac_f32_e32 v21, 0xb94c1982, v2
	v_fma_f32 v21, v2, v21, v8
	v_mul_f32_e32 v21, v2, v21
	v_fmac_f32_e32 v20, v20, v21
	v_mov_b32_e32 v21, 0xbab64f3b
	v_fmac_f32_e32 v21, 0x37d75334, v2
	v_fma_f32 v21, v2, v21, v9
	v_fma_f32 v21, v2, v21, v10
	v_fma_f32 v2, v2, v21, 1.0
	v_and_b32_e32 v21, 1, v19
	v_cmp_eq_u32_e32 vcc, 0, v21
	v_lshlrev_b32_e32 v19, 30, v19
	v_cndmask_b32_e64 v2, -v20, v2, vcc
	v_and_b32_e32 v19, 0x80000000, v19
	v_xor_b32_e32 v2, v19, v2
	v_mul_f32_e32 v19, v24, v24
	v_mov_b32_e32 v21, 0x3c0881c4
	v_fmac_f32_e32 v21, 0xb94c1982, v19
	v_fma_f32 v21, v19, v21, v8
	v_mul_f32_e32 v21, v19, v21
	v_fmac_f32_e32 v24, v24, v21
	v_mov_b32_e32 v21, 0xbab64f3b
	v_fmac_f32_e32 v21, 0x37d75334, v19
	v_fma_f32 v21, v19, v21, v9
	v_fma_f32 v21, v19, v21, v10
	v_fma_f32 v19, v19, v21, 1.0
	v_and_b32_e32 v21, 1, v23
	v_cmp_eq_u32_e64 s[0:1], 0, v21
	v_lshlrev_b32_e32 v21, 30, v23
	v_cmp_class_f32_e64 vcc, v17, s36
	v_and_b32_e32 v21, 0x80000000, v21
	v_xor_b32_e32 v17, v18, v17
	v_cndmask_b32_e64 v19, v19, v24, s[0:1]
	v_xor_b32_e32 v17, v17, v21
	v_xor_b32_e32 v17, v17, v19
	v_cndmask_b32_e32 v17, v13, v17, vcc
	v_cndmask_b32_e32 v20, v13, v2, vcc
	s_waitcnt lgkmcnt(0)
	v_mul_f32_e32 v18, v16, v17
	v_add_u32_e32 v2, s23, v14
	v_fma_f32 v21, v15, v20, -v18
	v_mov_b32_e32 v22, s20
	v_add_co_u32_e32 v18, vcc, s17, v4
	v_mul_f32_e32 v15, v15, v17
	v_addc_co_u32_e32 v19, vcc, v22, v5, vcc
	v_fmac_f32_e32 v15, v16, v20
	v_lshlrev_b64 v[16:17], 2, v[2:3]
	v_add_co_u32_e32 v16, vcc, s17, v16
	v_addc_co_u32_e32 v17, vcc, v22, v17, vcc
	v_mov_b32_e32 v2, s21
	v_add_co_u32_e32 v4, vcc, s19, v4
	v_add_u32_e32 v14, s22, v14
	v_addc_co_u32_e32 v5, vcc, v5, v2, vcc
	v_cmp_le_u32_e32 vcc, s23, v14
	s_or_b64 s[8:9], vcc, s[8:9]
	v_add_u32_e32 v6, s19, v6
	global_store_dword v[18:19], v21, off
	global_store_dword v[16:17], v15, off
	s_andn2_b64 exec, exec, s[8:9]
	s_cbranch_execz .LBB3_26
.LBB3_16:                               ; =>This Inner Loop Header: Depth=1
	v_add_co_u32_e32 v16, vcc, s12, v4
	v_addc_co_u32_e32 v17, vcc, v7, v5, vcc
	global_load_dword v2, v[16:17], off
	v_add_u32_e32 v16, s24, v6
	ds_read_b32 v15, v6
	ds_read_b32 v16, v16
                                        ; implicit-def: $vgpr20
	s_waitcnt vmcnt(0)
	v_mul_f32_e32 v17, v2, v1
	v_and_b32_e32 v18, 0x7fffffff, v17
	v_lshrrev_b32_e32 v2, 23, v18
	v_and_b32_e32 v19, 0x7fffff, v18
	v_cmp_nlt_f32_e64 s[10:11], |v17|, s13
	v_add_u32_e32 v22, 0xffffff88, v2
	v_or_b32_e32 v21, 0x800000, v19
                                        ; implicit-def: $vgpr19
	s_and_saveexec_b64 s[0:1], s[10:11]
	s_xor_b64 s[14:15], exec, s[0:1]
	s_cbranch_execz .LBB3_18
; %bb.17:                               ;   in Loop: Header=BB3_16 Depth=1
	v_cmp_lt_u32_e32 vcc, 63, v22
	v_cndmask_b32_e32 v2, 0, v11, vcc
	v_add_u32_e32 v2, v2, v22
	v_cmp_lt_u32_e64 s[0:1], 31, v2
	v_cndmask_b32_e64 v19, 0, v12, s[0:1]
	v_add_u32_e32 v2, v19, v2
	v_cmp_lt_u32_e64 s[2:3], 31, v2
	v_cndmask_b32_e64 v19, 0, v12, s[2:3]
	v_mad_u64_u32 v[24:25], s[4:5], v21, s25, 0
	v_add_u32_e32 v19, v19, v2
	v_mov_b32_e32 v2, v25
	v_mad_u64_u32 v[26:27], s[4:5], v21, s26, v[2:3]
	v_mov_b32_e32 v2, v27
	v_mad_u64_u32 v[28:29], s[4:5], v21, s27, v[2:3]
	;; [unrolled: 2-line block ×6, first 2 shown]
	v_cndmask_b32_e32 v20, v34, v30, vcc
	v_cndmask_b32_e32 v2, v36, v32, vcc
	;; [unrolled: 1-line block ×3, first 2 shown]
	v_cndmask_b32_e64 v23, v2, v20, s[0:1]
	v_cndmask_b32_e64 v2, v25, v2, s[0:1]
	v_cndmask_b32_e32 v25, v32, v28, vcc
	v_cndmask_b32_e64 v20, v20, v25, s[0:1]
	v_sub_u32_e32 v27, 32, v19
	v_cmp_eq_u32_e64 s[4:5], 0, v19
	v_cndmask_b32_e32 v19, v30, v26, vcc
	v_cndmask_b32_e64 v2, v2, v23, s[2:3]
	v_cndmask_b32_e64 v23, v23, v20, s[2:3]
	;; [unrolled: 1-line block ×3, first 2 shown]
	v_alignbit_b32 v29, v2, v23, v27
	v_cndmask_b32_e64 v20, v20, v25, s[2:3]
	v_cndmask_b32_e64 v2, v29, v2, s[4:5]
	v_alignbit_b32 v26, v23, v20, v27
	v_cndmask_b32_e32 v24, v28, v24, vcc
	v_cndmask_b32_e64 v23, v26, v23, s[4:5]
	v_bfe_u32 v30, v2, 29, 1
	v_cndmask_b32_e64 v19, v19, v24, s[0:1]
	v_alignbit_b32 v26, v2, v23, 30
	v_sub_u32_e32 v31, 0, v30
	v_cndmask_b32_e64 v19, v25, v19, s[2:3]
	v_xor_b32_e32 v32, v26, v31
	v_alignbit_b32 v24, v20, v19, v27
	v_cndmask_b32_e64 v20, v24, v20, s[4:5]
	v_ffbh_u32_e32 v24, v32
	v_add_u32_e32 v24, 1, v24
	v_cmp_ne_u32_e32 vcc, v26, v31
	v_alignbit_b32 v23, v23, v20, 30
	v_cndmask_b32_e32 v24, 33, v24, vcc
	v_alignbit_b32 v19, v20, v19, 30
	v_xor_b32_e32 v23, v23, v31
	v_sub_u32_e32 v25, 32, v24
	v_xor_b32_e32 v19, v19, v31
	v_alignbit_b32 v26, v32, v23, v25
	v_alignbit_b32 v19, v23, v19, v25
	v_alignbit_b32 v20, v26, v19, 9
	v_ffbh_u32_e32 v23, v20
	v_min_u32_e32 v23, 32, v23
	v_lshrrev_b32_e32 v29, 29, v2
	v_sub_u32_e32 v25, 31, v23
	v_alignbit_b32 v19, v20, v19, v25
	v_lshlrev_b32_e32 v20, 31, v29
	v_or_b32_e32 v25, 0x33800000, v20
	v_add_lshl_u32 v23, v23, v24, 23
	v_lshrrev_b32_e32 v19, 9, v19
	v_sub_u32_e32 v23, v25, v23
	v_or_b32_e32 v19, v23, v19
	v_alignbit_b32 v23, v24, v26, 9
	v_or_b32_e32 v20, v23, v20
	v_xor_b32_e32 v20, 1.0, v20
	v_mul_f32_e32 v23, 0x3fc90fda, v20
	v_fma_f32 v24, v20, s33, -v23
	v_fmac_f32_e32 v24, 0x33a22168, v20
	v_fmac_f32_e32 v24, 0x3fc90fda, v19
	v_lshrrev_b32_e32 v2, 30, v2
	v_add_f32_e32 v20, v23, v24
	v_add_u32_e32 v19, v30, v2
.LBB3_18:                               ;   in Loop: Header=BB3_16 Depth=1
	s_or_saveexec_b64 s[0:1], s[14:15]
	v_mul_f32_e64 v2, |v17|, s34
	v_rndne_f32_e32 v2, v2
	s_xor_b64 exec, exec, s[0:1]
; %bb.19:                               ;   in Loop: Header=BB3_16 Depth=1
	v_cvt_i32_f32_e32 v19, v2
	v_fma_f32 v20, v2, s35, |v17|
	v_fmac_f32_e32 v20, 0xb3a22168, v2
	v_fmac_f32_e32 v20, 0xa7c234c4, v2
; %bb.20:                               ;   in Loop: Header=BB3_16 Depth=1
	s_or_b64 exec, exec, s[0:1]
                                        ; implicit-def: $vgpr23
                                        ; implicit-def: $vgpr24
	s_and_saveexec_b64 s[0:1], s[10:11]
	s_xor_b64 s[10:11], exec, s[0:1]
	s_cbranch_execz .LBB3_22
; %bb.21:                               ;   in Loop: Header=BB3_16 Depth=1
	v_cmp_lt_u32_e32 vcc, 63, v22
	v_cndmask_b32_e32 v2, 0, v11, vcc
	v_add_u32_e32 v2, v2, v22
	v_cmp_lt_u32_e64 s[0:1], 31, v2
	v_cndmask_b32_e64 v22, 0, v12, s[0:1]
	v_add_u32_e32 v2, v22, v2
	v_cmp_lt_u32_e64 s[2:3], 31, v2
	v_cndmask_b32_e64 v22, 0, v12, s[2:3]
	v_add_u32_e32 v36, v22, v2
	v_mad_u64_u32 v[22:23], s[4:5], v21, s25, 0
	v_mov_b32_e32 v2, v23
	v_mad_u64_u32 v[24:25], s[4:5], v21, s26, v[2:3]
	v_mov_b32_e32 v2, v25
	;; [unrolled: 2-line block ×6, first 2 shown]
	v_mad_u64_u32 v[34:35], s[4:5], v21, s31, v[2:3]
	v_cndmask_b32_e32 v23, v32, v28, vcc
	v_cndmask_b32_e32 v2, v34, v30, vcc
	v_cndmask_b32_e32 v25, v35, v32, vcc
	v_cndmask_b32_e64 v21, v2, v23, s[0:1]
	v_cndmask_b32_e64 v2, v25, v2, s[0:1]
	v_cndmask_b32_e32 v25, v30, v26, vcc
	v_cndmask_b32_e64 v23, v23, v25, s[0:1]
	v_cndmask_b32_e32 v24, v28, v24, vcc
	v_cndmask_b32_e64 v2, v2, v21, s[2:3]
	v_cndmask_b32_e64 v21, v21, v23, s[2:3]
	v_sub_u32_e32 v27, 32, v36
	v_cndmask_b32_e64 v25, v25, v24, s[0:1]
	v_alignbit_b32 v29, v2, v21, v27
	v_cmp_eq_u32_e64 s[4:5], 0, v36
	v_cndmask_b32_e64 v23, v23, v25, s[2:3]
	v_cndmask_b32_e64 v2, v29, v2, s[4:5]
	v_alignbit_b32 v28, v21, v23, v27
	v_cndmask_b32_e32 v22, v26, v22, vcc
	v_cndmask_b32_e64 v21, v28, v21, s[4:5]
	v_bfe_u32 v30, v2, 29, 1
	v_cndmask_b32_e64 v22, v24, v22, s[0:1]
	v_alignbit_b32 v28, v2, v21, 30
	v_sub_u32_e32 v31, 0, v30
	v_cndmask_b32_e64 v22, v25, v22, s[2:3]
	v_xor_b32_e32 v32, v28, v31
	v_alignbit_b32 v24, v23, v22, v27
	v_cndmask_b32_e64 v23, v24, v23, s[4:5]
	v_ffbh_u32_e32 v24, v32
	v_add_u32_e32 v24, 1, v24
	v_cmp_ne_u32_e32 vcc, v28, v31
	v_alignbit_b32 v21, v21, v23, 30
	v_cndmask_b32_e32 v24, 33, v24, vcc
	v_alignbit_b32 v22, v23, v22, 30
	v_xor_b32_e32 v21, v21, v31
	v_sub_u32_e32 v25, 32, v24
	v_xor_b32_e32 v22, v22, v31
	v_alignbit_b32 v26, v32, v21, v25
	v_alignbit_b32 v21, v21, v22, v25
	;; [unrolled: 1-line block ×3, first 2 shown]
	v_ffbh_u32_e32 v23, v22
	v_min_u32_e32 v23, 32, v23
	v_lshrrev_b32_e32 v29, 29, v2
	v_sub_u32_e32 v25, 31, v23
	v_alignbit_b32 v21, v22, v21, v25
	v_lshlrev_b32_e32 v22, 31, v29
	v_or_b32_e32 v25, 0x33800000, v22
	v_add_lshl_u32 v23, v23, v24, 23
	v_lshrrev_b32_e32 v21, 9, v21
	v_sub_u32_e32 v23, v25, v23
	v_or_b32_e32 v21, v23, v21
	v_alignbit_b32 v23, v24, v26, 9
	v_or_b32_e32 v22, v23, v22
	v_xor_b32_e32 v22, 1.0, v22
	v_mul_f32_e32 v23, 0x3fc90fda, v22
	v_fma_f32 v24, v22, s33, -v23
	v_fmac_f32_e32 v24, 0x33a22168, v22
	v_fmac_f32_e32 v24, 0x3fc90fda, v21
	v_lshrrev_b32_e32 v2, 30, v2
	v_add_f32_e32 v24, v23, v24
	v_add_u32_e32 v23, v30, v2
                                        ; implicit-def: $vgpr2
	s_andn2_saveexec_b64 s[0:1], s[10:11]
	s_cbranch_execz .LBB3_15
	s_branch .LBB3_23
.LBB3_22:                               ;   in Loop: Header=BB3_16 Depth=1
	s_andn2_saveexec_b64 s[0:1], s[10:11]
	s_cbranch_execz .LBB3_15
.LBB3_23:                               ;   in Loop: Header=BB3_16 Depth=1
	v_cvt_i32_f32_e32 v23, v2
	v_fma_f32 v24, v2, s35, |v17|
	v_fmac_f32_e32 v24, 0xb3a22168, v2
	v_fmac_f32_e32 v24, 0xa7c234c4, v2
	s_branch .LBB3_15
.LBB3_24:
	s_or_b64 exec, exec, s[4:5]
	v_cmp_gt_u32_e32 vcc, 32, v0
	s_and_saveexec_b64 s[4:5], vcc
	s_cbranch_execz .LBB3_8
.LBB3_25:
	s_waitcnt lgkmcnt(0)
	ds_bpermute_b32 v1, v1, v4
	s_waitcnt lgkmcnt(0)
	v_add_f32_e32 v1, v4, v1
	ds_bpermute_b32 v2, v2, v1
	s_waitcnt lgkmcnt(0)
	v_add_f32_e32 v1, v1, v2
	;; [unrolled: 3-line block ×5, first 2 shown]
	s_or_b64 exec, exec, s[4:5]
	v_cmp_eq_u32_e32 vcc, 0, v0
	s_and_saveexec_b64 s[4:5], vcc
	s_cbranch_execnz .LBB3_9
	s_branch .LBB3_10
.LBB3_26:
	s_or_b64 exec, exec, s[6:7]
	v_add_u32_e32 v0, s18, v0
	v_cmp_gt_u32_e32 vcc, s16, v0
	s_and_saveexec_b64 s[0:1], vcc
	s_cbranch_execz .LBB3_29
; %bb.27:
	v_mov_b32_e32 v1, 0x84
	v_lshl_add_u32 v2, v0, 2, v1
	s_lshl_b32 s2, s22, 2
	s_mov_b64 s[0:1], 0
	v_mov_b32_e32 v1, 0
	v_mov_b32_e32 v3, s20
.LBB3_28:                               ; =>This Inner Loop Header: Depth=1
	ds_read_b32 v6, v2
	v_lshlrev_b64 v[4:5], 2, v[0:1]
	v_add_co_u32_e32 v4, vcc, s17, v4
	v_add_u32_e32 v0, s22, v0
	v_addc_co_u32_e32 v5, vcc, v3, v5, vcc
	v_cmp_le_u32_e32 vcc, s16, v0
	v_add_u32_e32 v2, s2, v2
	s_or_b64 s[0:1], vcc, s[0:1]
	s_waitcnt lgkmcnt(0)
	global_store_dword v[4:5], v6, off
	s_andn2_b64 exec, exec, s[0:1]
	s_cbranch_execnz .LBB3_28
.LBB3_29:
	s_endpgm
	.section	.rodata,"a",@progbits
	.p2align	6, 0x0
	.amdhsa_kernel rms_norm_rope
		.amdhsa_group_segment_fixed_size 132
		.amdhsa_private_segment_fixed_size 0
		.amdhsa_kernarg_size 312
		.amdhsa_user_sgpr_count 6
		.amdhsa_user_sgpr_private_segment_buffer 1
		.amdhsa_user_sgpr_dispatch_ptr 0
		.amdhsa_user_sgpr_queue_ptr 0
		.amdhsa_user_sgpr_kernarg_segment_ptr 1
		.amdhsa_user_sgpr_dispatch_id 0
		.amdhsa_user_sgpr_flat_scratch_init 0
		.amdhsa_user_sgpr_kernarg_preload_length 0
		.amdhsa_user_sgpr_kernarg_preload_offset 0
		.amdhsa_user_sgpr_private_segment_size 0
		.amdhsa_uses_dynamic_stack 0
		.amdhsa_system_sgpr_private_segment_wavefront_offset 0
		.amdhsa_system_sgpr_workgroup_id_x 1
		.amdhsa_system_sgpr_workgroup_id_y 0
		.amdhsa_system_sgpr_workgroup_id_z 0
		.amdhsa_system_sgpr_workgroup_info 0
		.amdhsa_system_vgpr_workitem_id 0
		.amdhsa_next_free_vgpr 38
		.amdhsa_next_free_sgpr 37
		.amdhsa_accum_offset 40
		.amdhsa_reserve_vcc 1
		.amdhsa_reserve_flat_scratch 0
		.amdhsa_float_round_mode_32 0
		.amdhsa_float_round_mode_16_64 0
		.amdhsa_float_denorm_mode_32 3
		.amdhsa_float_denorm_mode_16_64 3
		.amdhsa_dx10_clamp 1
		.amdhsa_ieee_mode 1
		.amdhsa_fp16_overflow 0
		.amdhsa_tg_split 0
		.amdhsa_exception_fp_ieee_invalid_op 0
		.amdhsa_exception_fp_denorm_src 0
		.amdhsa_exception_fp_ieee_div_zero 0
		.amdhsa_exception_fp_ieee_overflow 0
		.amdhsa_exception_fp_ieee_underflow 0
		.amdhsa_exception_fp_ieee_inexact 0
		.amdhsa_exception_int_div_zero 0
	.end_amdhsa_kernel
	.text
.Lfunc_end3:
	.size	rms_norm_rope, .Lfunc_end3-rms_norm_rope
                                        ; -- End function
	.section	.AMDGPU.csdata,"",@progbits
; Kernel info:
; codeLenInByte = 2828
; NumSgprs: 41
; NumVgprs: 38
; NumAgprs: 0
; TotalNumVgprs: 38
; ScratchSize: 0
; MemoryBound: 0
; FloatMode: 240
; IeeeMode: 1
; LDSByteSize: 132 bytes/workgroup (compile time only)
; SGPRBlocks: 5
; VGPRBlocks: 4
; NumSGPRsForWavesPerEU: 41
; NumVGPRsForWavesPerEU: 38
; AccumOffset: 40
; Occupancy: 8
; WaveLimiterHint : 0
; COMPUTE_PGM_RSRC2:SCRATCH_EN: 0
; COMPUTE_PGM_RSRC2:USER_SGPR: 6
; COMPUTE_PGM_RSRC2:TRAP_HANDLER: 0
; COMPUTE_PGM_RSRC2:TGID_X_EN: 1
; COMPUTE_PGM_RSRC2:TGID_Y_EN: 0
; COMPUTE_PGM_RSRC2:TGID_Z_EN: 0
; COMPUTE_PGM_RSRC2:TIDIG_COMP_CNT: 0
; COMPUTE_PGM_RSRC3_GFX90A:ACCUM_OFFSET: 9
; COMPUTE_PGM_RSRC3_GFX90A:TG_SPLIT: 0
	.text
	.protected	dmmv_q4k                ; -- Begin function dmmv_q4k
	.globl	dmmv_q4k
	.p2align	8
	.type	dmmv_q4k,@function
dmmv_q4k:                               ; @dmmv_q4k
; %bb.0:
	s_load_dwordx2 s[12:13], s[4:5], 0x18
	s_add_u32 s14, s4, 24
	s_addc_u32 s15, s5, 0
	s_waitcnt lgkmcnt(0)
	s_cmp_ge_u32 s6, s12
	s_cbranch_scc1 .LBB4_41
; %bb.1:
	s_load_dwordx2 s[10:11], s[4:5], 0x10
	s_load_dwordx4 s[0:3], s[4:5], 0x0
	s_load_dwordx2 s[8:9], s[14:15], 0x10
	v_cmp_gt_u32_e32 vcc, s13, v0
	v_mov_b32_e32 v1, 0
	s_and_saveexec_b64 s[14:15], vcc
	s_cbranch_execz .LBB4_31
; %bb.2:
	s_load_dwordx2 s[18:19], s[4:5], 0x20
	s_load_dword s12, s[4:5], 0x3c
	s_lshr_b32 s7, s13, 8
	s_mul_i32 s16, s6, s7
	s_mul_hi_u32 s7, s6, s7
	s_waitcnt lgkmcnt(0)
	s_and_b32 s17, s18, -4
	s_add_u32 s0, s0, s17
	s_mulk_i32 s7, 0x90
	s_mul_hi_u32 s17, s16, 0x90
	s_addc_u32 s1, s1, 0
	s_add_i32 s17, s17, s7
	s_mulk_i32 s16, 0x90
	s_add_u32 s16, s0, s16
	s_addc_u32 s17, s1, s17
	s_and_b32 s0, s19, -4
	s_add_u32 s7, s2, s0
	s_addc_u32 s0, s3, 0
	s_and_b32 s12, s12, 0xffff
	s_mov_b64 s[2:3], 0
	v_mov_b32_e32 v3, 0
	v_mov_b32_e32 v6, s17
	s_mov_b32 s22, 0x7f800000
	s_movk_i32 s23, 0x3ff
	s_mov_b32 s24, 0x7fc000
	s_brev_b32 s25, 1
	v_mov_b32_e32 v7, 13
	v_mov_b32_e32 v8, s0
	;; [unrolled: 1-line block ×4, first 2 shown]
	s_branch .LBB4_4
.LBB4_3:                                ;   in Loop: Header=BB4_4 Depth=1
	s_or_b64 exec, exec, s[0:1]
	v_and_b32_e32 v4, 31, v2
	v_lshl_or_b32 v4, v14, 5, v4
	v_add_co_u32_e32 v4, vcc, v10, v4
	v_addc_co_u32_e32 v5, vcc, 0, v11, vcc
	global_load_ubyte v10, v[4:5], off offset:16
	v_lshlrev_b64 v[4:5], 2, v[2:3]
	v_add_co_u32_e32 v4, vcc, s7, v4
	v_addc_co_u32_e32 v5, vcc, v8, v5, vcc
	global_load_dword v4, v[4:5], off
	v_cvt_f32_ubyte0_e32 v5, v15
	v_cvt_f32_ubyte0_e32 v11, v16
	v_mul_f32_e32 v5, v9, v5
	v_mul_f32_e32 v9, v12, v11
	v_cmp_eq_u32_e64 s[0:1], 0, v13
	v_add_u32_e32 v2, s12, v2
	v_cmp_le_u32_e32 vcc, s13, v2
	s_or_b64 s[2:3], vcc, s[2:3]
	s_waitcnt vmcnt(1)
	v_and_b32_e32 v11, 15, v10
	v_lshrrev_b32_e32 v10, 4, v10
	v_cndmask_b32_e64 v10, v10, v11, s[0:1]
	v_cvt_f32_ubyte0_e32 v10, v10
	v_fma_f32 v5, v5, v10, -v9
	s_waitcnt vmcnt(0)
	v_fmac_f32_e32 v1, v4, v5
	s_andn2_b64 exec, exec, s[2:3]
	s_cbranch_execz .LBB4_30
.LBB4_4:                                ; =>This Inner Loop Header: Depth=1
	v_lshrrev_b32_e32 v4, 8, v2
	v_mul_u32_u24_e32 v4, 36, v4
	v_lshlrev_b32_e32 v5, 2, v4
	global_load_dword v4, v5, s[16:17]
	s_waitcnt vmcnt(0)
	v_bfe_u32 v10, v4, 15, 1
	v_bfe_u32 v11, v4, 10, 5
	v_cmp_lt_i32_e32 vcc, 30, v11
	v_lshlrev_b32_e32 v9, 31, v10
	s_and_saveexec_b64 s[0:1], vcc
	s_xor_b64 s[0:1], exec, s[0:1]
; %bb.5:                                ;   in Loop: Header=BB4_4 Depth=1
	v_lshlrev_b32_e32 v9, 31, v10
	v_lshlrev_b32_sdwa v10, v7, v4 dst_sel:DWORD dst_unused:UNUSED_PAD src0_sel:DWORD src1_sel:WORD_0
	v_or3_b32 v9, v9, v10, s22
                                        ; implicit-def: $vgpr11
                                        ; implicit-def: $vgpr10
; %bb.6:                                ;   in Loop: Header=BB4_4 Depth=1
	s_andn2_saveexec_b64 s[0:1], s[0:1]
	s_cbranch_execz .LBB4_14
; %bb.7:                                ;   in Loop: Header=BB4_4 Depth=1
	v_and_b32_e32 v12, 0x3ff, v4
	v_cmp_ne_u32_e32 vcc, 0, v11
	s_and_saveexec_b64 s[18:19], vcc
	s_xor_b64 s[18:19], exec, s[18:19]
; %bb.8:                                ;   in Loop: Header=BB4_4 Depth=1
	v_lshlrev_b32_e32 v9, 31, v10
	v_lshlrev_b32_e32 v10, 23, v11
	;; [unrolled: 1-line block ×3, first 2 shown]
	v_or3_b32 v9, v10, v9, v11
	v_add_u32_e32 v9, 0x38000000, v9
                                        ; implicit-def: $vgpr12
                                        ; implicit-def: $vgpr10
; %bb.9:                                ;   in Loop: Header=BB4_4 Depth=1
	s_andn2_saveexec_b64 s[18:19], s[18:19]
	s_cbranch_execz .LBB4_13
; %bb.10:                               ;   in Loop: Header=BB4_4 Depth=1
	v_cmp_ne_u32_e32 vcc, 0, v12
	s_and_saveexec_b64 s[20:21], vcc
	s_xor_b64 s[20:21], exec, s[20:21]
; %bb.11:                               ;   in Loop: Header=BB4_4 Depth=1
	v_ffbh_u32_e32 v9, v12
	v_xor_b32_e32 v11, 31, v9
	v_sub_u32_e32 v11, 9, v11
	v_lshlrev_b32_e32 v11, v11, v4
	v_lshlrev_b32_e32 v10, 31, v10
	;; [unrolled: 1-line block ×4, first 2 shown]
	v_and_or_b32 v10, v11, s24, v10
	v_sub_u32_e32 v9, v10, v9
	v_add_u32_e32 v9, 0x43000000, v9
; %bb.12:                               ;   in Loop: Header=BB4_4 Depth=1
	s_andn2_saveexec_b64 s[20:21], s[20:21]
	s_or_b64 exec, exec, s[20:21]
.LBB4_13:                               ;   in Loop: Header=BB4_4 Depth=1
	s_or_b64 exec, exec, s[18:19]
.LBB4_14:                               ;   in Loop: Header=BB4_4 Depth=1
	s_or_b64 exec, exec, s[0:1]
	v_add_co_u32_e32 v10, vcc, s16, v5
	v_addc_co_u32_e32 v11, vcc, 0, v6, vcc
	v_bfe_u32 v13, v4, 26, 5
	v_cmp_lt_i32_e32 vcc, 30, v13
                                        ; implicit-def: $vgpr12
	s_and_saveexec_b64 s[0:1], vcc
	s_xor_b64 s[0:1], exec, s[0:1]
; %bb.15:                               ;   in Loop: Header=BB4_4 Depth=1
	v_and_b32_e32 v5, 0x80000000, v4
	v_lshlrev_b32_sdwa v4, v7, v4 dst_sel:DWORD dst_unused:UNUSED_PAD src0_sel:DWORD src1_sel:WORD_1
	v_or3_b32 v12, v4, v5, s22
                                        ; implicit-def: $vgpr4
                                        ; implicit-def: $vgpr13
; %bb.16:                               ;   in Loop: Header=BB4_4 Depth=1
	s_andn2_saveexec_b64 s[0:1], s[0:1]
	s_cbranch_execz .LBB4_26
; %bb.17:                               ;   in Loop: Header=BB4_4 Depth=1
	v_and_b32_sdwa v5, v4, s23 dst_sel:DWORD dst_unused:UNUSED_PAD src0_sel:WORD_1 src1_sel:DWORD
	v_cmp_ne_u32_e32 vcc, 0, v13
                                        ; implicit-def: $vgpr12
	s_and_saveexec_b64 s[18:19], vcc
	s_xor_b64 s[18:19], exec, s[18:19]
; %bb.18:                               ;   in Loop: Header=BB4_4 Depth=1
	v_and_b32_e32 v4, 0x80000000, v4
	v_lshlrev_b32_e32 v12, 23, v13
	v_lshlrev_b32_e32 v5, 13, v5
	v_or3_b32 v4, v12, v4, v5
	v_add_u32_e32 v12, 0x38000000, v4
                                        ; implicit-def: $vgpr4
                                        ; implicit-def: $vgpr5
; %bb.19:                               ;   in Loop: Header=BB4_4 Depth=1
	s_andn2_saveexec_b64 s[18:19], s[18:19]
	s_cbranch_execz .LBB4_25
; %bb.20:                               ;   in Loop: Header=BB4_4 Depth=1
	v_cmp_ne_u32_e32 vcc, 0, v5
                                        ; implicit-def: $vgpr12
	s_and_saveexec_b64 s[20:21], vcc
	s_xor_b64 s[20:21], exec, s[20:21]
; %bb.21:                               ;   in Loop: Header=BB4_4 Depth=1
	v_ffbh_u32_e32 v5, v5
	v_xor_b32_e32 v12, 31, v5
	v_sub_u32_e32 v12, 9, v12
	v_lshlrev_b32_sdwa v12, v12, v4 dst_sel:DWORD dst_unused:UNUSED_PAD src0_sel:DWORD src1_sel:WORD_1
	v_lshlrev_b32_e32 v12, 14, v12
	v_and_b32_e32 v12, 0x7fc000, v12
	v_lshlrev_b32_e32 v5, 23, v5
	v_and_or_b32 v4, v4, s25, v12
	v_sub_u32_e32 v4, v4, v5
	v_add_u32_e32 v12, 0x43000000, v4
                                        ; implicit-def: $vgpr4
; %bb.22:                               ;   in Loop: Header=BB4_4 Depth=1
	s_andn2_saveexec_b64 s[20:21], s[20:21]
; %bb.23:                               ;   in Loop: Header=BB4_4 Depth=1
	v_and_b32_e32 v12, 0x80000000, v4
; %bb.24:                               ;   in Loop: Header=BB4_4 Depth=1
	s_or_b64 exec, exec, s[20:21]
.LBB4_25:                               ;   in Loop: Header=BB4_4 Depth=1
	s_or_b64 exec, exec, s[18:19]
.LBB4_26:                               ;   in Loop: Header=BB4_4 Depth=1
	s_or_b64 exec, exec, s[0:1]
	v_bfe_u32 v14, v2, 6, 2
	v_bfe_u32 v13, v2, 5, 1
	v_lshl_or_b32 v4, v14, 1, v13
	v_add_co_u32_e64 v4, s[0:1], v10, v4
	v_cmp_lt_u32_e32 vcc, 1, v14
	v_addc_co_u32_e64 v5, s[0:1], 0, v11, s[0:1]
                                        ; implicit-def: $vgpr16
                                        ; implicit-def: $vgpr15
	s_and_saveexec_b64 s[0:1], vcc
	s_xor_b64 s[0:1], exec, s[0:1]
	s_cbranch_execz .LBB4_28
; %bb.27:                               ;   in Loop: Header=BB4_4 Depth=1
	global_load_ubyte v15, v[4:5], off offset:8
	global_load_ubyte v16, v[4:5], off
	global_load_ubyte v17, v[4:5], off offset:4
	s_waitcnt vmcnt(2)
	v_and_b32_e32 v4, 15, v15
	s_waitcnt vmcnt(1)
	v_lshrrev_b16_e32 v5, 2, v16
	v_lshrrev_b16_e32 v16, 4, v15
	s_waitcnt vmcnt(0)
	v_lshrrev_b16_e32 v15, 2, v17
	v_and_b32_e32 v5, 48, v5
	v_and_b32_e32 v17, 48, v15
	v_or_b32_e32 v15, v5, v4
	v_or_b32_e32 v16, v17, v16
                                        ; implicit-def: $vgpr4_vgpr5
.LBB4_28:                               ;   in Loop: Header=BB4_4 Depth=1
	s_andn2_saveexec_b64 s[0:1], s[0:1]
	s_cbranch_execz .LBB4_3
; %bb.29:                               ;   in Loop: Header=BB4_4 Depth=1
	global_load_ubyte v15, v[4:5], off offset:4
	global_load_ubyte v16, v[4:5], off offset:8
	s_waitcnt vmcnt(1)
	v_and_b32_e32 v15, 63, v15
	s_waitcnt vmcnt(0)
	v_and_b32_e32 v16, 63, v16
	s_branch .LBB4_3
.LBB4_30:
	s_or_b64 exec, exec, s[2:3]
.LBB4_31:
	s_or_b64 exec, exec, s[14:15]
	v_mbcnt_lo_u32_b32 v2, -1, 0
	v_mbcnt_hi_u32_b32 v4, -1, v2
	v_and_b32_e32 v6, 63, v4
	v_cmp_gt_u32_e32 vcc, 48, v6
	v_cndmask_b32_e64 v2, 0, 1, vcc
	v_lshlrev_b32_e32 v2, 4, v2
	v_add_lshl_u32 v2, v2, v4, 2
	ds_bpermute_b32 v3, v2, v1
	v_cmp_gt_u32_e32 vcc, 56, v6
	v_cndmask_b32_e64 v5, 0, 1, vcc
	v_lshlrev_b32_e32 v5, 3, v5
	v_cmp_gt_u32_e32 vcc, 60, v6
	s_waitcnt lgkmcnt(0)
	v_add_f32_e32 v3, v1, v3
	v_add_lshl_u32 v1, v5, v4, 2
	ds_bpermute_b32 v5, v1, v3
	v_cndmask_b32_e64 v7, 0, 1, vcc
	v_lshlrev_b32_e32 v7, 2, v7
	v_cmp_gt_u32_e32 vcc, 62, v6
	v_cndmask_b32_e64 v8, 0, 1, vcc
	s_waitcnt lgkmcnt(0)
	v_add_f32_e32 v5, v3, v5
	v_add_lshl_u32 v3, v7, v4, 2
	ds_bpermute_b32 v7, v3, v5
	v_lshlrev_b32_e32 v8, 1, v8
	v_cmp_ne_u32_e32 vcc, 63, v6
	v_addc_co_u32_e32 v6, vcc, 0, v4, vcc
	s_waitcnt lgkmcnt(0)
	v_add_f32_e32 v7, v5, v7
	v_add_lshl_u32 v5, v8, v4, 2
	ds_bpermute_b32 v8, v5, v7
	v_lshlrev_b32_e32 v6, 2, v6
	s_waitcnt lgkmcnt(0)
	v_add_f32_e32 v4, v7, v8
	ds_bpermute_b32 v8, v6, v4
	v_and_b32_e32 v7, 31, v0
	v_cmp_eq_u32_e32 vcc, 0, v7
	s_and_saveexec_b64 s[0:1], vcc
	s_cbranch_execz .LBB4_33
; %bb.32:
	s_waitcnt lgkmcnt(0)
	v_add_f32_e32 v4, v4, v8
	v_lshrrev_b32_e32 v8, 3, v0
	ds_write_b32 v8, v4
.LBB4_33:
	s_or_b64 exec, exec, s[0:1]
	s_waitcnt lgkmcnt(0)
	s_barrier
	s_load_dword s0, s[4:5], 0x3c
	v_mov_b32_e32 v4, 0
	s_waitcnt lgkmcnt(0)
	s_and_b32 s0, s0, 0xffff
	s_add_i32 s0, s0, 31
	s_lshr_b32 s0, s0, 5
	v_cmp_gt_u32_e32 vcc, s0, v0
	s_and_saveexec_b64 s[0:1], vcc
	s_cbranch_execz .LBB4_35
; %bb.34:
	v_lshlrev_b32_e32 v4, 2, v7
	ds_read_b32 v4, v4
.LBB4_35:
	s_or_b64 exec, exec, s[0:1]
	v_cmp_gt_u32_e32 vcc, 32, v0
	s_and_saveexec_b64 s[0:1], vcc
	s_cbranch_execz .LBB4_37
; %bb.36:
	s_waitcnt lgkmcnt(0)
	ds_bpermute_b32 v2, v2, v4
	s_waitcnt lgkmcnt(0)
	v_add_f32_e32 v2, v4, v2
	ds_bpermute_b32 v1, v1, v2
	s_waitcnt lgkmcnt(0)
	v_add_f32_e32 v1, v2, v1
	;; [unrolled: 3-line block ×5, first 2 shown]
.LBB4_37:
	s_or_b64 exec, exec, s[0:1]
	s_mov_b32 s1, 0
	v_cmp_eq_u32_e32 vcc, 0, v0
	s_and_saveexec_b64 s[2:3], vcc
	s_cbranch_execz .LBB4_41
; %bb.38:
	s_lshr_b32 s0, s8, 2
	s_add_i32 s0, s0, s6
	s_lshl_b64 s[0:1], s[0:1], 2
	s_add_u32 s0, s10, s0
	s_addc_u32 s1, s11, s1
	s_cmp_eq_u32 s9, 0
	s_cbranch_scc1 .LBB4_40
; %bb.39:
	s_load_dword s2, s[0:1], 0x0
	s_waitcnt lgkmcnt(0)
	v_add_f32_e32 v4, s2, v4
.LBB4_40:
	v_mov_b32_e32 v0, 0
	s_waitcnt lgkmcnt(0)
	global_store_dword v0, v4, s[0:1]
.LBB4_41:
	s_endpgm
	.section	.rodata,"a",@progbits
	.p2align	6, 0x0
	.amdhsa_kernel dmmv_q4k
		.amdhsa_group_segment_fixed_size 128
		.amdhsa_private_segment_fixed_size 0
		.amdhsa_kernarg_size 304
		.amdhsa_user_sgpr_count 6
		.amdhsa_user_sgpr_private_segment_buffer 1
		.amdhsa_user_sgpr_dispatch_ptr 0
		.amdhsa_user_sgpr_queue_ptr 0
		.amdhsa_user_sgpr_kernarg_segment_ptr 1
		.amdhsa_user_sgpr_dispatch_id 0
		.amdhsa_user_sgpr_flat_scratch_init 0
		.amdhsa_user_sgpr_kernarg_preload_length 0
		.amdhsa_user_sgpr_kernarg_preload_offset 0
		.amdhsa_user_sgpr_private_segment_size 0
		.amdhsa_uses_dynamic_stack 0
		.amdhsa_system_sgpr_private_segment_wavefront_offset 0
		.amdhsa_system_sgpr_workgroup_id_x 1
		.amdhsa_system_sgpr_workgroup_id_y 0
		.amdhsa_system_sgpr_workgroup_id_z 0
		.amdhsa_system_sgpr_workgroup_info 0
		.amdhsa_system_vgpr_workitem_id 0
		.amdhsa_next_free_vgpr 18
		.amdhsa_next_free_sgpr 26
		.amdhsa_accum_offset 20
		.amdhsa_reserve_vcc 1
		.amdhsa_reserve_flat_scratch 0
		.amdhsa_float_round_mode_32 0
		.amdhsa_float_round_mode_16_64 0
		.amdhsa_float_denorm_mode_32 3
		.amdhsa_float_denorm_mode_16_64 3
		.amdhsa_dx10_clamp 1
		.amdhsa_ieee_mode 1
		.amdhsa_fp16_overflow 0
		.amdhsa_tg_split 0
		.amdhsa_exception_fp_ieee_invalid_op 0
		.amdhsa_exception_fp_denorm_src 0
		.amdhsa_exception_fp_ieee_div_zero 0
		.amdhsa_exception_fp_ieee_overflow 0
		.amdhsa_exception_fp_ieee_underflow 0
		.amdhsa_exception_fp_ieee_inexact 0
		.amdhsa_exception_int_div_zero 0
	.end_amdhsa_kernel
	.text
.Lfunc_end4:
	.size	dmmv_q4k, .Lfunc_end4-dmmv_q4k
                                        ; -- End function
	.section	.AMDGPU.csdata,"",@progbits
; Kernel info:
; codeLenInByte = 1448
; NumSgprs: 30
; NumVgprs: 18
; NumAgprs: 0
; TotalNumVgprs: 18
; ScratchSize: 0
; MemoryBound: 0
; FloatMode: 240
; IeeeMode: 1
; LDSByteSize: 128 bytes/workgroup (compile time only)
; SGPRBlocks: 3
; VGPRBlocks: 2
; NumSGPRsForWavesPerEU: 30
; NumVGPRsForWavesPerEU: 18
; AccumOffset: 20
; Occupancy: 8
; WaveLimiterHint : 0
; COMPUTE_PGM_RSRC2:SCRATCH_EN: 0
; COMPUTE_PGM_RSRC2:USER_SGPR: 6
; COMPUTE_PGM_RSRC2:TRAP_HANDLER: 0
; COMPUTE_PGM_RSRC2:TGID_X_EN: 1
; COMPUTE_PGM_RSRC2:TGID_Y_EN: 0
; COMPUTE_PGM_RSRC2:TGID_Z_EN: 0
; COMPUTE_PGM_RSRC2:TIDIG_COMP_CNT: 0
; COMPUTE_PGM_RSRC3_GFX90A:ACCUM_OFFSET: 4
; COMPUTE_PGM_RSRC3_GFX90A:TG_SPLIT: 0
	.text
	.protected	swiglu                  ; -- Begin function swiglu
	.globl	swiglu
	.p2align	8
	.type	swiglu,@function
swiglu:                                 ; @swiglu
; %bb.0:
	s_load_dword s0, s[4:5], 0x2c
	s_load_dword s1, s[4:5], 0x18
	s_waitcnt lgkmcnt(0)
	s_and_b32 s0, s0, 0xffff
	s_mul_i32 s6, s6, s0
	v_add_u32_e32 v0, s6, v0
	v_cmp_gt_u32_e32 vcc, s1, v0
	s_and_saveexec_b64 s[0:1], vcc
	s_cbranch_execz .LBB5_2
; %bb.1:
	s_load_dwordx4 s[0:3], s[4:5], 0x0
	s_load_dwordx2 s[6:7], s[4:5], 0x10
	v_mov_b32_e32 v1, 0
	v_lshlrev_b64 v[0:1], 2, v[0:1]
	s_waitcnt lgkmcnt(0)
	v_mov_b32_e32 v3, s1
	v_add_co_u32_e32 v2, vcc, s0, v0
	v_addc_co_u32_e32 v3, vcc, v3, v1, vcc
	global_load_dword v4, v[2:3], off
	v_mov_b32_e32 v3, s3
	v_add_co_u32_e32 v2, vcc, s2, v0
	v_addc_co_u32_e32 v3, vcc, v3, v1, vcc
	global_load_dword v2, v[2:3], off
	s_mov_b32 s0, 0xbfb8aa3b
	s_mov_b32 s1, 0xc2b17218
	v_mov_b32_e32 v7, s7
	s_waitcnt vmcnt(1)
	v_mul_f32_e32 v3, 0xbfb8aa3b, v4
	v_fma_f32 v5, v4, s0, -v3
	v_rndne_f32_e32 v6, v3
	v_fmac_f32_e32 v5, 0xb2a5705f, v4
	v_sub_f32_e32 v3, v3, v6
	v_add_f32_e32 v3, v3, v5
	v_cvt_i32_f32_e32 v6, v6
	v_exp_f32_e32 v3, v3
	s_mov_b32 s0, 0x42ce8ed0
	v_cmp_nlt_f32_e32 vcc, s0, v4
	v_mov_b32_e32 v5, 0x7f800000
	v_ldexp_f32 v3, v3, v6
	v_cndmask_b32_e32 v3, 0, v3, vcc
	v_cmp_ngt_f32_e32 vcc, s1, v4
	v_cndmask_b32_e32 v3, v5, v3, vcc
	v_add_f32_e32 v3, 1.0, v3
	v_div_scale_f32 v5, s[0:1], v3, v3, v4
	v_rcp_f32_e32 v6, v5
	v_div_scale_f32 v8, vcc, v4, v3, v4
	v_fma_f32 v9, -v5, v6, 1.0
	v_fmac_f32_e32 v6, v9, v6
	v_mul_f32_e32 v9, v8, v6
	v_fma_f32 v10, -v5, v9, v8
	v_fmac_f32_e32 v9, v10, v6
	v_fma_f32 v5, -v5, v9, v8
	v_div_fmas_f32 v5, v5, v6, v9
	v_div_fixup_f32 v3, v5, v3, v4
	v_add_co_u32_e32 v0, vcc, s6, v0
	s_waitcnt vmcnt(0)
	v_mul_f32_e32 v2, v2, v3
	v_addc_co_u32_e32 v1, vcc, v7, v1, vcc
	global_store_dword v[0:1], v2, off
.LBB5_2:
	s_endpgm
	.section	.rodata,"a",@progbits
	.p2align	6, 0x0
	.amdhsa_kernel swiglu
		.amdhsa_group_segment_fixed_size 0
		.amdhsa_private_segment_fixed_size 0
		.amdhsa_kernarg_size 288
		.amdhsa_user_sgpr_count 6
		.amdhsa_user_sgpr_private_segment_buffer 1
		.amdhsa_user_sgpr_dispatch_ptr 0
		.amdhsa_user_sgpr_queue_ptr 0
		.amdhsa_user_sgpr_kernarg_segment_ptr 1
		.amdhsa_user_sgpr_dispatch_id 0
		.amdhsa_user_sgpr_flat_scratch_init 0
		.amdhsa_user_sgpr_kernarg_preload_length 0
		.amdhsa_user_sgpr_kernarg_preload_offset 0
		.amdhsa_user_sgpr_private_segment_size 0
		.amdhsa_uses_dynamic_stack 0
		.amdhsa_system_sgpr_private_segment_wavefront_offset 0
		.amdhsa_system_sgpr_workgroup_id_x 1
		.amdhsa_system_sgpr_workgroup_id_y 0
		.amdhsa_system_sgpr_workgroup_id_z 0
		.amdhsa_system_sgpr_workgroup_info 0
		.amdhsa_system_vgpr_workitem_id 0
		.amdhsa_next_free_vgpr 11
		.amdhsa_next_free_sgpr 8
		.amdhsa_accum_offset 12
		.amdhsa_reserve_vcc 1
		.amdhsa_reserve_flat_scratch 0
		.amdhsa_float_round_mode_32 0
		.amdhsa_float_round_mode_16_64 0
		.amdhsa_float_denorm_mode_32 3
		.amdhsa_float_denorm_mode_16_64 3
		.amdhsa_dx10_clamp 1
		.amdhsa_ieee_mode 1
		.amdhsa_fp16_overflow 0
		.amdhsa_tg_split 0
		.amdhsa_exception_fp_ieee_invalid_op 0
		.amdhsa_exception_fp_denorm_src 0
		.amdhsa_exception_fp_ieee_div_zero 0
		.amdhsa_exception_fp_ieee_overflow 0
		.amdhsa_exception_fp_ieee_underflow 0
		.amdhsa_exception_fp_ieee_inexact 0
		.amdhsa_exception_int_div_zero 0
	.end_amdhsa_kernel
	.text
.Lfunc_end5:
	.size	swiglu, .Lfunc_end5-swiglu
                                        ; -- End function
	.section	.AMDGPU.csdata,"",@progbits
; Kernel info:
; codeLenInByte = 332
; NumSgprs: 12
; NumVgprs: 11
; NumAgprs: 0
; TotalNumVgprs: 11
; ScratchSize: 0
; MemoryBound: 0
; FloatMode: 240
; IeeeMode: 1
; LDSByteSize: 0 bytes/workgroup (compile time only)
; SGPRBlocks: 1
; VGPRBlocks: 1
; NumSGPRsForWavesPerEU: 12
; NumVGPRsForWavesPerEU: 11
; AccumOffset: 12
; Occupancy: 8
; WaveLimiterHint : 0
; COMPUTE_PGM_RSRC2:SCRATCH_EN: 0
; COMPUTE_PGM_RSRC2:USER_SGPR: 6
; COMPUTE_PGM_RSRC2:TRAP_HANDLER: 0
; COMPUTE_PGM_RSRC2:TGID_X_EN: 1
; COMPUTE_PGM_RSRC2:TGID_Y_EN: 0
; COMPUTE_PGM_RSRC2:TGID_Z_EN: 0
; COMPUTE_PGM_RSRC2:TIDIG_COMP_CNT: 0
; COMPUTE_PGM_RSRC3_GFX90A:ACCUM_OFFSET: 2
; COMPUTE_PGM_RSRC3_GFX90A:TG_SPLIT: 0
	.text
	.protected	scale_accumulate        ; -- Begin function scale_accumulate
	.globl	scale_accumulate
	.p2align	8
	.type	scale_accumulate,@function
scale_accumulate:                       ; @scale_accumulate
; %bb.0:
	s_load_dword s0, s[4:5], 0x24
	s_load_dword s1, s[4:5], 0x10
	s_waitcnt lgkmcnt(0)
	s_and_b32 s0, s0, 0xffff
	s_mul_i32 s6, s6, s0
	v_add_u32_e32 v0, s6, v0
	v_cmp_gt_u32_e32 vcc, s1, v0
	s_and_saveexec_b64 s[0:1], vcc
	s_cbranch_execz .LBB6_2
; %bb.1:
	s_load_dwordx4 s[0:3], s[4:5], 0x0
	s_load_dword s6, s[4:5], 0x14
	v_mov_b32_e32 v1, 0
	v_lshlrev_b64 v[0:1], 2, v[0:1]
	s_waitcnt lgkmcnt(0)
	v_mov_b32_e32 v3, s3
	v_add_co_u32_e32 v2, vcc, s2, v0
	v_addc_co_u32_e32 v3, vcc, v3, v1, vcc
	global_load_dword v2, v[2:3], off
	v_mov_b32_e32 v3, s1
	v_add_co_u32_e32 v0, vcc, s0, v0
	v_addc_co_u32_e32 v1, vcc, v3, v1, vcc
	global_load_dword v3, v[0:1], off
	s_waitcnt vmcnt(0)
	v_fmac_f32_e32 v3, s6, v2
	global_store_dword v[0:1], v3, off
.LBB6_2:
	s_endpgm
	.section	.rodata,"a",@progbits
	.p2align	6, 0x0
	.amdhsa_kernel scale_accumulate
		.amdhsa_group_segment_fixed_size 0
		.amdhsa_private_segment_fixed_size 0
		.amdhsa_kernarg_size 280
		.amdhsa_user_sgpr_count 6
		.amdhsa_user_sgpr_private_segment_buffer 1
		.amdhsa_user_sgpr_dispatch_ptr 0
		.amdhsa_user_sgpr_queue_ptr 0
		.amdhsa_user_sgpr_kernarg_segment_ptr 1
		.amdhsa_user_sgpr_dispatch_id 0
		.amdhsa_user_sgpr_flat_scratch_init 0
		.amdhsa_user_sgpr_kernarg_preload_length 0
		.amdhsa_user_sgpr_kernarg_preload_offset 0
		.amdhsa_user_sgpr_private_segment_size 0
		.amdhsa_uses_dynamic_stack 0
		.amdhsa_system_sgpr_private_segment_wavefront_offset 0
		.amdhsa_system_sgpr_workgroup_id_x 1
		.amdhsa_system_sgpr_workgroup_id_y 0
		.amdhsa_system_sgpr_workgroup_id_z 0
		.amdhsa_system_sgpr_workgroup_info 0
		.amdhsa_system_vgpr_workitem_id 0
		.amdhsa_next_free_vgpr 4
		.amdhsa_next_free_sgpr 7
		.amdhsa_accum_offset 4
		.amdhsa_reserve_vcc 1
		.amdhsa_reserve_flat_scratch 0
		.amdhsa_float_round_mode_32 0
		.amdhsa_float_round_mode_16_64 0
		.amdhsa_float_denorm_mode_32 3
		.amdhsa_float_denorm_mode_16_64 3
		.amdhsa_dx10_clamp 1
		.amdhsa_ieee_mode 1
		.amdhsa_fp16_overflow 0
		.amdhsa_tg_split 0
		.amdhsa_exception_fp_ieee_invalid_op 0
		.amdhsa_exception_fp_denorm_src 0
		.amdhsa_exception_fp_ieee_div_zero 0
		.amdhsa_exception_fp_ieee_overflow 0
		.amdhsa_exception_fp_ieee_underflow 0
		.amdhsa_exception_fp_ieee_inexact 0
		.amdhsa_exception_int_div_zero 0
	.end_amdhsa_kernel
	.text
.Lfunc_end6:
	.size	scale_accumulate, .Lfunc_end6-scale_accumulate
                                        ; -- End function
	.section	.AMDGPU.csdata,"",@progbits
; Kernel info:
; codeLenInByte = 140
; NumSgprs: 11
; NumVgprs: 4
; NumAgprs: 0
; TotalNumVgprs: 4
; ScratchSize: 0
; MemoryBound: 0
; FloatMode: 240
; IeeeMode: 1
; LDSByteSize: 0 bytes/workgroup (compile time only)
; SGPRBlocks: 1
; VGPRBlocks: 0
; NumSGPRsForWavesPerEU: 11
; NumVGPRsForWavesPerEU: 4
; AccumOffset: 4
; Occupancy: 8
; WaveLimiterHint : 0
; COMPUTE_PGM_RSRC2:SCRATCH_EN: 0
; COMPUTE_PGM_RSRC2:USER_SGPR: 6
; COMPUTE_PGM_RSRC2:TRAP_HANDLER: 0
; COMPUTE_PGM_RSRC2:TGID_X_EN: 1
; COMPUTE_PGM_RSRC2:TGID_Y_EN: 0
; COMPUTE_PGM_RSRC2:TGID_Z_EN: 0
; COMPUTE_PGM_RSRC2:TIDIG_COMP_CNT: 0
; COMPUTE_PGM_RSRC3_GFX90A:ACCUM_OFFSET: 0
; COMPUTE_PGM_RSRC3_GFX90A:TG_SPLIT: 0
	.text
	.protected	sigmoid_scale_acc       ; -- Begin function sigmoid_scale_acc
	.globl	sigmoid_scale_acc
	.p2align	8
	.type	sigmoid_scale_acc,@function
sigmoid_scale_acc:                      ; @sigmoid_scale_acc
; %bb.0:
	s_load_dword s0, s[4:5], 0x2c
	s_load_dword s1, s[4:5], 0x18
	s_waitcnt lgkmcnt(0)
	s_and_b32 s0, s0, 0xffff
	s_mul_i32 s6, s6, s0
	v_add_u32_e32 v0, s6, v0
	v_cmp_gt_u32_e32 vcc, s1, v0
	s_and_saveexec_b64 s[0:1], vcc
	s_cbranch_execz .LBB7_2
; %bb.1:
	s_load_dwordx4 s[0:3], s[4:5], 0x0
	s_load_dwordx2 s[6:7], s[4:5], 0x10
	v_mov_b32_e32 v1, 0
	v_lshlrev_b64 v[0:1], 2, v[0:1]
	v_mov_b32_e32 v4, 0xbfb8aa3b
	s_waitcnt lgkmcnt(0)
	v_mov_b32_e32 v3, s3
	v_add_co_u32_e32 v2, vcc, s2, v0
	v_addc_co_u32_e32 v3, vcc, v3, v1, vcc
	global_load_dword v2, v[2:3], off
	v_mov_b32_e32 v3, s1
	v_add_co_u32_e32 v0, vcc, s0, v0
	v_addc_co_u32_e32 v1, vcc, v3, v1, vcc
	global_load_dword v3, v[0:1], off
	s_load_dword s0, s[6:7], 0x0
	v_mov_b32_e32 v6, 0xb2a5705f
	s_waitcnt lgkmcnt(0)
	v_mul_f32_e32 v5, s0, v4
	v_fma_f32 v4, s0, v4, -v5
	v_fmac_f32_e32 v4, s0, v6
	v_rndne_f32_e32 v6, v5
	v_sub_f32_e32 v5, v5, v6
	v_add_f32_e32 v4, v5, v4
	v_exp_f32_e32 v4, v4
	v_cvt_i32_f32_e32 v5, v6
	v_mov_b32_e32 v6, 0x7f800000
	v_ldexp_f32 v4, v4, v5
	v_mov_b32_e32 v5, 0x42ce8ed0
	v_cmp_ngt_f32_e32 vcc, s0, v5
	v_mov_b32_e32 v5, 0xc2b17218
	v_cndmask_b32_e32 v4, 0, v4, vcc
	v_cmp_nlt_f32_e32 vcc, s0, v5
	v_cndmask_b32_e32 v4, v6, v4, vcc
	v_add_f32_e32 v4, 1.0, v4
	v_div_scale_f32 v5, s[0:1], v4, v4, 1.0
	v_rcp_f32_e32 v6, v5
	v_fma_f32 v7, -v5, v6, 1.0
	v_fmac_f32_e32 v6, v7, v6
	v_div_scale_f32 v7, vcc, 1.0, v4, 1.0
	v_mul_f32_e32 v8, v7, v6
	v_fma_f32 v9, -v5, v8, v7
	v_fmac_f32_e32 v8, v9, v6
	v_fma_f32 v5, -v5, v8, v7
	v_div_fmas_f32 v5, v5, v6, v8
	v_div_fixup_f32 v4, v5, v4, 1.0
	s_waitcnt vmcnt(0)
	v_fmac_f32_e32 v3, v2, v4
	global_store_dword v[0:1], v3, off
.LBB7_2:
	s_endpgm
	.section	.rodata,"a",@progbits
	.p2align	6, 0x0
	.amdhsa_kernel sigmoid_scale_acc
		.amdhsa_group_segment_fixed_size 0
		.amdhsa_private_segment_fixed_size 0
		.amdhsa_kernarg_size 288
		.amdhsa_user_sgpr_count 6
		.amdhsa_user_sgpr_private_segment_buffer 1
		.amdhsa_user_sgpr_dispatch_ptr 0
		.amdhsa_user_sgpr_queue_ptr 0
		.amdhsa_user_sgpr_kernarg_segment_ptr 1
		.amdhsa_user_sgpr_dispatch_id 0
		.amdhsa_user_sgpr_flat_scratch_init 0
		.amdhsa_user_sgpr_kernarg_preload_length 0
		.amdhsa_user_sgpr_kernarg_preload_offset 0
		.amdhsa_user_sgpr_private_segment_size 0
		.amdhsa_uses_dynamic_stack 0
		.amdhsa_system_sgpr_private_segment_wavefront_offset 0
		.amdhsa_system_sgpr_workgroup_id_x 1
		.amdhsa_system_sgpr_workgroup_id_y 0
		.amdhsa_system_sgpr_workgroup_id_z 0
		.amdhsa_system_sgpr_workgroup_info 0
		.amdhsa_system_vgpr_workitem_id 0
		.amdhsa_next_free_vgpr 10
		.amdhsa_next_free_sgpr 8
		.amdhsa_accum_offset 12
		.amdhsa_reserve_vcc 1
		.amdhsa_reserve_flat_scratch 0
		.amdhsa_float_round_mode_32 0
		.amdhsa_float_round_mode_16_64 0
		.amdhsa_float_denorm_mode_32 3
		.amdhsa_float_denorm_mode_16_64 3
		.amdhsa_dx10_clamp 1
		.amdhsa_ieee_mode 1
		.amdhsa_fp16_overflow 0
		.amdhsa_tg_split 0
		.amdhsa_exception_fp_ieee_invalid_op 0
		.amdhsa_exception_fp_denorm_src 0
		.amdhsa_exception_fp_ieee_div_zero 0
		.amdhsa_exception_fp_ieee_overflow 0
		.amdhsa_exception_fp_ieee_underflow 0
		.amdhsa_exception_fp_ieee_inexact 0
		.amdhsa_exception_int_div_zero 0
	.end_amdhsa_kernel
	.text
.Lfunc_end7:
	.size	sigmoid_scale_acc, .Lfunc_end7-sigmoid_scale_acc
                                        ; -- End function
	.section	.AMDGPU.csdata,"",@progbits
; Kernel info:
; codeLenInByte = 328
; NumSgprs: 12
; NumVgprs: 10
; NumAgprs: 0
; TotalNumVgprs: 10
; ScratchSize: 0
; MemoryBound: 0
; FloatMode: 240
; IeeeMode: 1
; LDSByteSize: 0 bytes/workgroup (compile time only)
; SGPRBlocks: 1
; VGPRBlocks: 1
; NumSGPRsForWavesPerEU: 12
; NumVGPRsForWavesPerEU: 10
; AccumOffset: 12
; Occupancy: 8
; WaveLimiterHint : 0
; COMPUTE_PGM_RSRC2:SCRATCH_EN: 0
; COMPUTE_PGM_RSRC2:USER_SGPR: 6
; COMPUTE_PGM_RSRC2:TRAP_HANDLER: 0
; COMPUTE_PGM_RSRC2:TGID_X_EN: 1
; COMPUTE_PGM_RSRC2:TGID_Y_EN: 0
; COMPUTE_PGM_RSRC2:TGID_Z_EN: 0
; COMPUTE_PGM_RSRC2:TIDIG_COMP_CNT: 0
; COMPUTE_PGM_RSRC3_GFX90A:ACCUM_OFFSET: 2
; COMPUTE_PGM_RSRC3_GFX90A:TG_SPLIT: 0
	.text
	.protected	dmmv_f32                ; -- Begin function dmmv_f32
	.globl	dmmv_f32
	.p2align	8
	.type	dmmv_f32,@function
dmmv_f32:                               ; @dmmv_f32
; %bb.0:
	s_load_dwordx2 s[12:13], s[4:5], 0x18
	s_add_u32 s14, s4, 24
	s_addc_u32 s15, s5, 0
	s_waitcnt lgkmcnt(0)
	s_cmp_ge_u32 s6, s12
	s_cbranch_scc1 .LBB8_15
; %bb.1:
	s_load_dwordx2 s[10:11], s[4:5], 0x10
	s_load_dwordx4 s[0:3], s[4:5], 0x0
	s_load_dwordx2 s[8:9], s[14:15], 0x10
	v_cmp_gt_u32_e32 vcc, s13, v0
	v_mov_b32_e32 v4, 0
	s_and_saveexec_b64 s[14:15], vcc
	s_cbranch_execz .LBB8_5
; %bb.2:
	s_load_dwordx2 s[16:17], s[4:5], 0x20
	s_load_dword s12, s[4:5], 0x3c
	s_mul_hi_u32 s19, s13, s6
	s_mul_i32 s18, s13, s6
	v_mov_b32_e32 v3, 0
	s_waitcnt lgkmcnt(0)
	s_and_b32 s7, s16, -4
	s_add_u32 s7, s0, s7
	s_addc_u32 s16, s1, 0
	s_lshl_b64 s[0:1], s[18:19], 2
	s_add_u32 s7, s7, s0
	s_addc_u32 s16, s16, s1
	s_and_b32 s0, s17, -4
	s_add_u32 s2, s2, s0
	s_addc_u32 s17, s3, 0
	s_and_b32 s3, s12, 0xffff
	s_mov_b64 s[0:1], 0
	v_mov_b32_e32 v1, s16
	v_mov_b32_e32 v5, s17
	;; [unrolled: 1-line block ×4, first 2 shown]
.LBB8_3:                                ; =>This Inner Loop Header: Depth=1
	v_lshlrev_b64 v[6:7], 2, v[2:3]
	v_add_co_u32_e32 v8, vcc, s7, v6
	v_addc_co_u32_e32 v9, vcc, v1, v7, vcc
	v_add_co_u32_e32 v6, vcc, s2, v6
	v_addc_co_u32_e32 v7, vcc, v5, v7, vcc
	global_load_dword v10, v[8:9], off
	global_load_dword v11, v[6:7], off
	v_add_u32_e32 v2, s3, v2
	v_cmp_le_u32_e32 vcc, s13, v2
	s_or_b64 s[0:1], vcc, s[0:1]
	s_waitcnt vmcnt(0)
	v_fmac_f32_e32 v4, v10, v11
	s_andn2_b64 exec, exec, s[0:1]
	s_cbranch_execnz .LBB8_3
; %bb.4:
	s_or_b64 exec, exec, s[0:1]
.LBB8_5:
	s_or_b64 exec, exec, s[14:15]
	v_mbcnt_lo_u32_b32 v1, -1, 0
	v_mbcnt_hi_u32_b32 v6, -1, v1
	v_and_b32_e32 v7, 63, v6
	v_cmp_gt_u32_e32 vcc, 48, v7
	v_cndmask_b32_e64 v1, 0, 1, vcc
	v_lshlrev_b32_e32 v1, 4, v1
	v_add_lshl_u32 v1, v1, v6, 2
	ds_bpermute_b32 v2, v1, v4
	v_cmp_gt_u32_e32 vcc, 56, v7
	v_cndmask_b32_e64 v3, 0, 1, vcc
	v_lshlrev_b32_e32 v3, 3, v3
	v_cmp_gt_u32_e32 vcc, 60, v7
	s_waitcnt lgkmcnt(0)
	v_add_f32_e32 v4, v4, v2
	v_add_lshl_u32 v2, v3, v6, 2
	ds_bpermute_b32 v3, v2, v4
	v_cndmask_b32_e64 v5, 0, 1, vcc
	v_lshlrev_b32_e32 v5, 2, v5
	v_cmp_gt_u32_e32 vcc, 62, v7
	v_cndmask_b32_e64 v8, 0, 1, vcc
	s_waitcnt lgkmcnt(0)
	v_add_f32_e32 v4, v4, v3
	v_add_lshl_u32 v3, v5, v6, 2
	ds_bpermute_b32 v5, v3, v4
	v_lshlrev_b32_e32 v8, 1, v8
	v_cmp_ne_u32_e32 vcc, 63, v7
	v_and_b32_e32 v7, 31, v0
	s_waitcnt lgkmcnt(0)
	v_add_f32_e32 v4, v4, v5
	v_add_lshl_u32 v5, v8, v6, 2
	ds_bpermute_b32 v8, v5, v4
	v_addc_co_u32_e32 v6, vcc, 0, v6, vcc
	v_lshlrev_b32_e32 v6, 2, v6
	v_cmp_eq_u32_e32 vcc, 0, v7
	s_waitcnt lgkmcnt(0)
	v_add_f32_e32 v4, v4, v8
	ds_bpermute_b32 v8, v6, v4
	s_and_saveexec_b64 s[0:1], vcc
	s_cbranch_execz .LBB8_7
; %bb.6:
	s_waitcnt lgkmcnt(0)
	v_add_f32_e32 v4, v4, v8
	v_lshrrev_b32_e32 v8, 3, v0
	ds_write_b32 v8, v4
.LBB8_7:
	s_or_b64 exec, exec, s[0:1]
	s_waitcnt lgkmcnt(0)
	s_barrier
	s_load_dword s0, s[4:5], 0x3c
	v_mov_b32_e32 v4, 0
	s_waitcnt lgkmcnt(0)
	s_and_b32 s0, s0, 0xffff
	s_add_i32 s0, s0, 31
	s_lshr_b32 s0, s0, 5
	v_cmp_gt_u32_e32 vcc, s0, v0
	s_and_saveexec_b64 s[0:1], vcc
	s_cbranch_execz .LBB8_9
; %bb.8:
	v_lshlrev_b32_e32 v4, 2, v7
	ds_read_b32 v4, v4
.LBB8_9:
	s_or_b64 exec, exec, s[0:1]
	v_cmp_gt_u32_e32 vcc, 32, v0
	s_and_saveexec_b64 s[0:1], vcc
	s_cbranch_execz .LBB8_11
; %bb.10:
	s_waitcnt lgkmcnt(0)
	ds_bpermute_b32 v1, v1, v4
	s_waitcnt lgkmcnt(0)
	v_add_f32_e32 v1, v4, v1
	ds_bpermute_b32 v2, v2, v1
	s_waitcnt lgkmcnt(0)
	v_add_f32_e32 v1, v1, v2
	;; [unrolled: 3-line block ×5, first 2 shown]
.LBB8_11:
	s_or_b64 exec, exec, s[0:1]
	s_mov_b32 s1, 0
	v_cmp_eq_u32_e32 vcc, 0, v0
	s_and_saveexec_b64 s[2:3], vcc
	s_cbranch_execz .LBB8_15
; %bb.12:
	s_lshr_b32 s0, s8, 2
	s_add_i32 s0, s0, s6
	s_lshl_b64 s[0:1], s[0:1], 2
	s_add_u32 s0, s10, s0
	s_addc_u32 s1, s11, s1
	s_cmp_eq_u32 s9, 0
	s_cbranch_scc1 .LBB8_14
; %bb.13:
	s_load_dword s2, s[0:1], 0x0
	s_waitcnt lgkmcnt(0)
	v_add_f32_e32 v4, s2, v4
.LBB8_14:
	v_mov_b32_e32 v0, 0
	s_waitcnt lgkmcnt(0)
	global_store_dword v0, v4, s[0:1]
.LBB8_15:
	s_endpgm
	.section	.rodata,"a",@progbits
	.p2align	6, 0x0
	.amdhsa_kernel dmmv_f32
		.amdhsa_group_segment_fixed_size 128
		.amdhsa_private_segment_fixed_size 0
		.amdhsa_kernarg_size 304
		.amdhsa_user_sgpr_count 6
		.amdhsa_user_sgpr_private_segment_buffer 1
		.amdhsa_user_sgpr_dispatch_ptr 0
		.amdhsa_user_sgpr_queue_ptr 0
		.amdhsa_user_sgpr_kernarg_segment_ptr 1
		.amdhsa_user_sgpr_dispatch_id 0
		.amdhsa_user_sgpr_flat_scratch_init 0
		.amdhsa_user_sgpr_kernarg_preload_length 0
		.amdhsa_user_sgpr_kernarg_preload_offset 0
		.amdhsa_user_sgpr_private_segment_size 0
		.amdhsa_uses_dynamic_stack 0
		.amdhsa_system_sgpr_private_segment_wavefront_offset 0
		.amdhsa_system_sgpr_workgroup_id_x 1
		.amdhsa_system_sgpr_workgroup_id_y 0
		.amdhsa_system_sgpr_workgroup_id_z 0
		.amdhsa_system_sgpr_workgroup_info 0
		.amdhsa_system_vgpr_workitem_id 0
		.amdhsa_next_free_vgpr 12
		.amdhsa_next_free_sgpr 20
		.amdhsa_accum_offset 12
		.amdhsa_reserve_vcc 1
		.amdhsa_reserve_flat_scratch 0
		.amdhsa_float_round_mode_32 0
		.amdhsa_float_round_mode_16_64 0
		.amdhsa_float_denorm_mode_32 3
		.amdhsa_float_denorm_mode_16_64 3
		.amdhsa_dx10_clamp 1
		.amdhsa_ieee_mode 1
		.amdhsa_fp16_overflow 0
		.amdhsa_tg_split 0
		.amdhsa_exception_fp_ieee_invalid_op 0
		.amdhsa_exception_fp_denorm_src 0
		.amdhsa_exception_fp_ieee_div_zero 0
		.amdhsa_exception_fp_ieee_overflow 0
		.amdhsa_exception_fp_ieee_underflow 0
		.amdhsa_exception_fp_ieee_inexact 0
		.amdhsa_exception_int_div_zero 0
	.end_amdhsa_kernel
	.text
.Lfunc_end8:
	.size	dmmv_f32, .Lfunc_end8-dmmv_f32
                                        ; -- End function
	.section	.AMDGPU.csdata,"",@progbits
; Kernel info:
; codeLenInByte = 728
; NumSgprs: 24
; NumVgprs: 12
; NumAgprs: 0
; TotalNumVgprs: 12
; ScratchSize: 0
; MemoryBound: 0
; FloatMode: 240
; IeeeMode: 1
; LDSByteSize: 128 bytes/workgroup (compile time only)
; SGPRBlocks: 2
; VGPRBlocks: 1
; NumSGPRsForWavesPerEU: 24
; NumVGPRsForWavesPerEU: 12
; AccumOffset: 12
; Occupancy: 8
; WaveLimiterHint : 0
; COMPUTE_PGM_RSRC2:SCRATCH_EN: 0
; COMPUTE_PGM_RSRC2:USER_SGPR: 6
; COMPUTE_PGM_RSRC2:TRAP_HANDLER: 0
; COMPUTE_PGM_RSRC2:TGID_X_EN: 1
; COMPUTE_PGM_RSRC2:TGID_Y_EN: 0
; COMPUTE_PGM_RSRC2:TGID_Z_EN: 0
; COMPUTE_PGM_RSRC2:TIDIG_COMP_CNT: 0
; COMPUTE_PGM_RSRC3_GFX90A:ACCUM_OFFSET: 2
; COMPUTE_PGM_RSRC3_GFX90A:TG_SPLIT: 0
	.text
	.protected	dmmv_q8_0               ; -- Begin function dmmv_q8_0
	.globl	dmmv_q8_0
	.p2align	8
	.type	dmmv_q8_0,@function
dmmv_q8_0:                              ; @dmmv_q8_0
; %bb.0:
	s_load_dwordx2 s[12:13], s[4:5], 0x18
	s_add_u32 s14, s4, 24
	s_addc_u32 s15, s5, 0
	s_waitcnt lgkmcnt(0)
	s_cmp_ge_u32 s6, s12
	s_cbranch_scc1 .LBB9_25
; %bb.1:
	s_load_dwordx2 s[10:11], s[4:5], 0x10
	s_load_dwordx4 s[0:3], s[4:5], 0x0
	s_load_dwordx2 s[8:9], s[14:15], 0x10
	v_cmp_gt_u32_e32 vcc, s13, v0
	v_mov_b32_e32 v1, 0
	s_and_saveexec_b64 s[14:15], vcc
	s_cbranch_execz .LBB9_15
; %bb.2:
	s_load_dwordx2 s[16:17], s[4:5], 0x20
	s_load_dword s12, s[4:5], 0x3c
	s_lshr_b32 s7, s13, 5
	s_mul_i32 s18, s6, s7
	s_mul_hi_u32 s7, s6, s7
	s_waitcnt lgkmcnt(0)
	s_add_u32 s0, s0, s16
	s_mul_i32 s7, s7, 34
	s_mul_hi_u32 s16, s18, 34
	s_addc_u32 s1, s1, 0
	s_add_i32 s16, s16, s7
	s_mul_i32 s18, s18, 34
	s_add_u32 s0, s0, s18
	s_addc_u32 s1, s1, s16
	s_and_b32 s7, s17, -4
	s_add_u32 s7, s2, s7
	s_addc_u32 s16, s3, 0
	s_and_b32 s12, s12, 0xffff
	s_mov_b64 s[2:3], 0
	v_mov_b32_e32 v3, 0
	s_mov_b32 s22, 0x6050400
	s_mov_b32 s23, 0x7f800000
	s_mov_b32 s24, 0x7fc000
	v_mov_b32_e32 v6, s16
	v_mov_b32_e32 v1, 0
	;; [unrolled: 1-line block ×3, first 2 shown]
	s_branch .LBB9_6
.LBB9_3:                                ;   in Loop: Header=BB9_6 Depth=1
	s_andn2_saveexec_b64 s[20:21], s[20:21]
	s_or_b64 exec, exec, s[20:21]
.LBB9_4:                                ;   in Loop: Header=BB9_6 Depth=1
	s_or_b64 exec, exec, s[18:19]
.LBB9_5:                                ;   in Loop: Header=BB9_6 Depth=1
	s_or_b64 exec, exec, s[16:17]
	v_and_b32_e32 v8, 31, v2
	v_add_co_u32_e32 v4, vcc, v4, v8
	v_addc_co_u32_e32 v5, vcc, 0, v5, vcc
	global_load_sbyte v8, v[4:5], off offset:2
	v_lshlrev_b64 v[4:5], 2, v[2:3]
	v_add_co_u32_e32 v4, vcc, s7, v4
	v_addc_co_u32_e32 v5, vcc, v6, v5, vcc
	global_load_dword v4, v[4:5], off
	v_add_u32_e32 v2, s12, v2
	v_cmp_le_u32_e32 vcc, s13, v2
	s_or_b64 s[2:3], vcc, s[2:3]
	s_waitcnt vmcnt(1)
	v_cvt_f32_i32_e32 v5, v8
	v_mul_f32_e32 v5, v7, v5
	s_waitcnt vmcnt(0)
	v_fmac_f32_e32 v1, v4, v5
	s_andn2_b64 exec, exec, s[2:3]
	s_cbranch_execz .LBB9_14
.LBB9_6:                                ; =>This Inner Loop Header: Depth=1
	v_lshrrev_b32_e32 v4, 5, v2
	v_mad_u64_u32 v[4:5], s[16:17], v4, 34, s[0:1]
	global_load_ushort v7, v[4:5], off
	s_waitcnt vmcnt(0)
	v_lshrrev_b16_e32 v10, 8, v7
	v_perm_b32 v8, v10, v7, s22
	v_lshrrev_b32_e32 v9, 7, v10
	v_bfe_u32 v10, v10, 2, 5
	v_cmp_lt_i32_e32 vcc, 30, v10
	v_lshlrev_b32_e32 v7, 31, v9
	s_and_saveexec_b64 s[16:17], vcc
	s_xor_b64 s[16:17], exec, s[16:17]
; %bb.7:                                ;   in Loop: Header=BB9_6 Depth=1
	v_lshlrev_b32_e32 v7, 31, v9
	v_lshlrev_b32_e32 v8, 13, v8
	v_or3_b32 v7, v8, v7, s23
                                        ; implicit-def: $vgpr8
                                        ; implicit-def: $vgpr10
                                        ; implicit-def: $vgpr9
; %bb.8:                                ;   in Loop: Header=BB9_6 Depth=1
	s_andn2_saveexec_b64 s[16:17], s[16:17]
	s_cbranch_execz .LBB9_5
; %bb.9:                                ;   in Loop: Header=BB9_6 Depth=1
	v_and_b32_e32 v11, 0x3ff, v8
	v_cmp_ne_u32_e32 vcc, 0, v10
	s_and_saveexec_b64 s[18:19], vcc
	s_xor_b64 s[18:19], exec, s[18:19]
; %bb.10:                               ;   in Loop: Header=BB9_6 Depth=1
	v_lshlrev_b32_e32 v7, 31, v9
	v_lshlrev_b32_e32 v8, 23, v10
	;; [unrolled: 1-line block ×3, first 2 shown]
	v_or3_b32 v7, v8, v7, v9
	v_add_u32_e32 v7, 0x38000000, v7
                                        ; implicit-def: $vgpr11
                                        ; implicit-def: $vgpr8
                                        ; implicit-def: $vgpr9
; %bb.11:                               ;   in Loop: Header=BB9_6 Depth=1
	s_andn2_saveexec_b64 s[18:19], s[18:19]
	s_cbranch_execz .LBB9_4
; %bb.12:                               ;   in Loop: Header=BB9_6 Depth=1
	v_cmp_ne_u32_e32 vcc, 0, v11
	s_and_saveexec_b64 s[20:21], vcc
	s_xor_b64 s[20:21], exec, s[20:21]
	s_cbranch_execz .LBB9_3
; %bb.13:                               ;   in Loop: Header=BB9_6 Depth=1
	v_ffbh_u32_e32 v7, v11
	v_xor_b32_e32 v10, 31, v7
	v_sub_u32_e32 v10, 9, v10
	v_lshlrev_b32_e32 v8, v10, v8
	v_lshlrev_b32_e32 v9, 31, v9
	v_lshlrev_b32_e32 v8, 14, v8
	v_lshlrev_b32_e32 v7, 23, v7
	v_and_or_b32 v8, v8, s24, v9
	v_sub_u32_e32 v7, v8, v7
	v_add_u32_e32 v7, 0x43000000, v7
	s_branch .LBB9_3
.LBB9_14:
	s_or_b64 exec, exec, s[2:3]
.LBB9_15:
	s_or_b64 exec, exec, s[14:15]
	v_mbcnt_lo_u32_b32 v2, -1, 0
	v_mbcnt_hi_u32_b32 v4, -1, v2
	v_and_b32_e32 v6, 63, v4
	v_cmp_gt_u32_e32 vcc, 48, v6
	v_cndmask_b32_e64 v2, 0, 1, vcc
	v_lshlrev_b32_e32 v2, 4, v2
	v_add_lshl_u32 v2, v2, v4, 2
	ds_bpermute_b32 v3, v2, v1
	v_cmp_gt_u32_e32 vcc, 56, v6
	v_cndmask_b32_e64 v5, 0, 1, vcc
	v_lshlrev_b32_e32 v5, 3, v5
	v_cmp_gt_u32_e32 vcc, 60, v6
	s_waitcnt lgkmcnt(0)
	v_add_f32_e32 v3, v1, v3
	v_add_lshl_u32 v1, v5, v4, 2
	ds_bpermute_b32 v5, v1, v3
	v_cndmask_b32_e64 v7, 0, 1, vcc
	v_lshlrev_b32_e32 v7, 2, v7
	v_cmp_gt_u32_e32 vcc, 62, v6
	v_cndmask_b32_e64 v8, 0, 1, vcc
	s_waitcnt lgkmcnt(0)
	v_add_f32_e32 v5, v3, v5
	v_add_lshl_u32 v3, v7, v4, 2
	ds_bpermute_b32 v7, v3, v5
	v_lshlrev_b32_e32 v8, 1, v8
	v_cmp_ne_u32_e32 vcc, 63, v6
	v_addc_co_u32_e32 v6, vcc, 0, v4, vcc
	s_waitcnt lgkmcnt(0)
	v_add_f32_e32 v7, v5, v7
	v_add_lshl_u32 v5, v8, v4, 2
	ds_bpermute_b32 v8, v5, v7
	v_lshlrev_b32_e32 v6, 2, v6
	s_waitcnt lgkmcnt(0)
	v_add_f32_e32 v4, v7, v8
	ds_bpermute_b32 v8, v6, v4
	v_and_b32_e32 v7, 31, v0
	v_cmp_eq_u32_e32 vcc, 0, v7
	s_and_saveexec_b64 s[0:1], vcc
	s_cbranch_execz .LBB9_17
; %bb.16:
	s_waitcnt lgkmcnt(0)
	v_add_f32_e32 v4, v4, v8
	v_lshrrev_b32_e32 v8, 3, v0
	ds_write_b32 v8, v4
.LBB9_17:
	s_or_b64 exec, exec, s[0:1]
	s_waitcnt lgkmcnt(0)
	s_barrier
	s_load_dword s0, s[4:5], 0x3c
	v_mov_b32_e32 v4, 0
	s_waitcnt lgkmcnt(0)
	s_and_b32 s0, s0, 0xffff
	s_add_i32 s0, s0, 31
	s_lshr_b32 s0, s0, 5
	v_cmp_gt_u32_e32 vcc, s0, v0
	s_and_saveexec_b64 s[0:1], vcc
	s_cbranch_execz .LBB9_19
; %bb.18:
	v_lshlrev_b32_e32 v4, 2, v7
	ds_read_b32 v4, v4
.LBB9_19:
	s_or_b64 exec, exec, s[0:1]
	v_cmp_gt_u32_e32 vcc, 32, v0
	s_and_saveexec_b64 s[0:1], vcc
	s_cbranch_execz .LBB9_21
; %bb.20:
	s_waitcnt lgkmcnt(0)
	ds_bpermute_b32 v2, v2, v4
	s_waitcnt lgkmcnt(0)
	v_add_f32_e32 v2, v4, v2
	ds_bpermute_b32 v1, v1, v2
	s_waitcnt lgkmcnt(0)
	v_add_f32_e32 v1, v2, v1
	;; [unrolled: 3-line block ×5, first 2 shown]
.LBB9_21:
	s_or_b64 exec, exec, s[0:1]
	s_mov_b32 s1, 0
	v_cmp_eq_u32_e32 vcc, 0, v0
	s_and_saveexec_b64 s[2:3], vcc
	s_cbranch_execz .LBB9_25
; %bb.22:
	s_lshr_b32 s0, s8, 2
	s_add_i32 s0, s0, s6
	s_lshl_b64 s[0:1], s[0:1], 2
	s_add_u32 s0, s10, s0
	s_addc_u32 s1, s11, s1
	s_cmp_eq_u32 s9, 0
	s_cbranch_scc1 .LBB9_24
; %bb.23:
	s_load_dword s2, s[0:1], 0x0
	s_waitcnt lgkmcnt(0)
	v_add_f32_e32 v4, s2, v4
.LBB9_24:
	v_mov_b32_e32 v0, 0
	s_waitcnt lgkmcnt(0)
	global_store_dword v0, v4, s[0:1]
.LBB9_25:
	s_endpgm
	.section	.rodata,"a",@progbits
	.p2align	6, 0x0
	.amdhsa_kernel dmmv_q8_0
		.amdhsa_group_segment_fixed_size 128
		.amdhsa_private_segment_fixed_size 0
		.amdhsa_kernarg_size 304
		.amdhsa_user_sgpr_count 6
		.amdhsa_user_sgpr_private_segment_buffer 1
		.amdhsa_user_sgpr_dispatch_ptr 0
		.amdhsa_user_sgpr_queue_ptr 0
		.amdhsa_user_sgpr_kernarg_segment_ptr 1
		.amdhsa_user_sgpr_dispatch_id 0
		.amdhsa_user_sgpr_flat_scratch_init 0
		.amdhsa_user_sgpr_kernarg_preload_length 0
		.amdhsa_user_sgpr_kernarg_preload_offset 0
		.amdhsa_user_sgpr_private_segment_size 0
		.amdhsa_uses_dynamic_stack 0
		.amdhsa_system_sgpr_private_segment_wavefront_offset 0
		.amdhsa_system_sgpr_workgroup_id_x 1
		.amdhsa_system_sgpr_workgroup_id_y 0
		.amdhsa_system_sgpr_workgroup_id_z 0
		.amdhsa_system_sgpr_workgroup_info 0
		.amdhsa_system_vgpr_workitem_id 0
		.amdhsa_next_free_vgpr 12
		.amdhsa_next_free_sgpr 25
		.amdhsa_accum_offset 12
		.amdhsa_reserve_vcc 1
		.amdhsa_reserve_flat_scratch 0
		.amdhsa_float_round_mode_32 0
		.amdhsa_float_round_mode_16_64 0
		.amdhsa_float_denorm_mode_32 3
		.amdhsa_float_denorm_mode_16_64 3
		.amdhsa_dx10_clamp 1
		.amdhsa_ieee_mode 1
		.amdhsa_fp16_overflow 0
		.amdhsa_tg_split 0
		.amdhsa_exception_fp_ieee_invalid_op 0
		.amdhsa_exception_fp_denorm_src 0
		.amdhsa_exception_fp_ieee_div_zero 0
		.amdhsa_exception_fp_ieee_overflow 0
		.amdhsa_exception_fp_ieee_underflow 0
		.amdhsa_exception_fp_ieee_inexact 0
		.amdhsa_exception_int_div_zero 0
	.end_amdhsa_kernel
	.text
.Lfunc_end9:
	.size	dmmv_q8_0, .Lfunc_end9-dmmv_q8_0
                                        ; -- End function
	.section	.AMDGPU.csdata,"",@progbits
; Kernel info:
; codeLenInByte = 1008
; NumSgprs: 29
; NumVgprs: 12
; NumAgprs: 0
; TotalNumVgprs: 12
; ScratchSize: 0
; MemoryBound: 0
; FloatMode: 240
; IeeeMode: 1
; LDSByteSize: 128 bytes/workgroup (compile time only)
; SGPRBlocks: 3
; VGPRBlocks: 1
; NumSGPRsForWavesPerEU: 29
; NumVGPRsForWavesPerEU: 12
; AccumOffset: 12
; Occupancy: 8
; WaveLimiterHint : 0
; COMPUTE_PGM_RSRC2:SCRATCH_EN: 0
; COMPUTE_PGM_RSRC2:USER_SGPR: 6
; COMPUTE_PGM_RSRC2:TRAP_HANDLER: 0
; COMPUTE_PGM_RSRC2:TGID_X_EN: 1
; COMPUTE_PGM_RSRC2:TGID_Y_EN: 0
; COMPUTE_PGM_RSRC2:TGID_Z_EN: 0
; COMPUTE_PGM_RSRC2:TIDIG_COMP_CNT: 0
; COMPUTE_PGM_RSRC3_GFX90A:ACCUM_OFFSET: 2
; COMPUTE_PGM_RSRC3_GFX90A:TG_SPLIT: 0
	.text
	.protected	dmmv_q5_1               ; -- Begin function dmmv_q5_1
	.globl	dmmv_q5_1
	.p2align	8
	.type	dmmv_q5_1,@function
dmmv_q5_1:                              ; @dmmv_q5_1
; %bb.0:
	s_load_dwordx2 s[12:13], s[4:5], 0x18
	s_add_u32 s14, s4, 24
	s_addc_u32 s15, s5, 0
	s_waitcnt lgkmcnt(0)
	s_cmp_ge_u32 s6, s12
	s_cbranch_scc1 .LBB10_39
; %bb.1:
	s_load_dwordx2 s[10:11], s[4:5], 0x10
	s_load_dwordx4 s[0:3], s[4:5], 0x0
	s_load_dwordx2 s[8:9], s[14:15], 0x10
	v_cmp_gt_u32_e32 vcc, s13, v0
	v_mov_b32_e32 v1, 0
	s_and_saveexec_b64 s[14:15], vcc
	s_cbranch_execz .LBB10_29
; %bb.2:
	s_load_dwordx2 s[18:19], s[4:5], 0x20
	s_load_dword s12, s[4:5], 0x3c
	s_lshr_b32 s7, s13, 5
	s_mul_i32 s16, s6, s7
	s_mul_hi_u32 s7, s6, s7
	s_waitcnt lgkmcnt(0)
	s_add_u32 s0, s0, s18
	s_mul_i32 s7, s7, 24
	s_mul_hi_u32 s17, s16, 24
	s_addc_u32 s1, s1, 0
	s_add_i32 s17, s17, s7
	s_mul_i32 s16, s16, 24
	s_add_u32 s16, s0, s16
	s_addc_u32 s17, s1, s17
	s_and_b32 s0, s19, -4
	s_add_u32 s7, s2, s0
	s_addc_u32 s0, s3, 0
	s_and_b32 s12, s12, 0xffff
	s_mov_b64 s[2:3], 0
	v_mov_b32_e32 v3, 0
	v_mov_b32_e32 v6, s17
	s_mov_b32 s22, 0x6050400
	s_mov_b32 s23, 0x7f800000
	;; [unrolled: 1-line block ×3, first 2 shown]
	v_mov_b32_e32 v7, s0
	v_mov_b32_e32 v1, 0
	;; [unrolled: 1-line block ×3, first 2 shown]
	s_branch .LBB10_4
.LBB10_3:                               ;   in Loop: Header=BB10_4 Depth=1
	s_or_b64 exec, exec, s[0:1]
	v_lshlrev_b64 v[4:5], 2, v[2:3]
	v_add_co_u32_e32 v4, vcc, s7, v4
	v_addc_co_u32_e32 v5, vcc, v7, v5, vcc
	global_load_dword v4, v[4:5], off
	s_waitcnt vmcnt(1)
	v_lshrrev_b32_e32 v5, v11, v10
	v_lshlrev_b32_e32 v5, 4, v5
	v_and_or_b32 v5, v5, 16, v12
	v_cvt_f32_ubyte0_e32 v5, v5
	v_add_u32_e32 v2, s12, v2
	v_fmac_f32_e32 v9, v8, v5
	v_cmp_le_u32_e32 vcc, s13, v2
	s_or_b64 s[2:3], vcc, s[2:3]
	s_waitcnt vmcnt(0)
	v_fmac_f32_e32 v1, v4, v9
	s_andn2_b64 exec, exec, s[2:3]
	s_cbranch_execz .LBB10_28
.LBB10_4:                               ; =>This Inner Loop Header: Depth=1
	v_lshrrev_b32_e32 v4, 5, v2
	v_mul_lo_u32 v4, v4, 24
	global_load_ushort v5, v4, s[16:17]
	s_waitcnt vmcnt(0)
	v_lshrrev_b16_e32 v8, 8, v5
	v_lshrrev_b32_e32 v9, 7, v8
	v_bfe_u32 v10, v8, 2, 5
	v_perm_b32 v5, v8, v5, s22
	v_cmp_lt_i32_e32 vcc, 30, v10
	v_lshlrev_b32_e32 v8, 31, v9
	s_and_saveexec_b64 s[0:1], vcc
	s_xor_b64 s[0:1], exec, s[0:1]
; %bb.5:                                ;   in Loop: Header=BB10_4 Depth=1
	v_lshlrev_b32_e32 v8, 31, v9
	v_lshlrev_b32_e32 v5, 13, v5
	v_or3_b32 v8, v5, v8, s23
                                        ; implicit-def: $vgpr5
                                        ; implicit-def: $vgpr10
                                        ; implicit-def: $vgpr9
; %bb.6:                                ;   in Loop: Header=BB10_4 Depth=1
	s_andn2_saveexec_b64 s[0:1], s[0:1]
	s_cbranch_execz .LBB10_14
; %bb.7:                                ;   in Loop: Header=BB10_4 Depth=1
	v_and_b32_e32 v11, 0x3ff, v5
	v_cmp_ne_u32_e32 vcc, 0, v10
	s_and_saveexec_b64 s[18:19], vcc
	s_xor_b64 s[18:19], exec, s[18:19]
; %bb.8:                                ;   in Loop: Header=BB10_4 Depth=1
	v_lshlrev_b32_e32 v5, 31, v9
	v_lshlrev_b32_e32 v8, 23, v10
	;; [unrolled: 1-line block ×3, first 2 shown]
	v_or3_b32 v5, v8, v5, v9
	v_add_u32_e32 v8, 0x38000000, v5
                                        ; implicit-def: $vgpr11
                                        ; implicit-def: $vgpr5
                                        ; implicit-def: $vgpr9
; %bb.9:                                ;   in Loop: Header=BB10_4 Depth=1
	s_andn2_saveexec_b64 s[18:19], s[18:19]
	s_cbranch_execz .LBB10_13
; %bb.10:                               ;   in Loop: Header=BB10_4 Depth=1
	v_cmp_ne_u32_e32 vcc, 0, v11
	s_and_saveexec_b64 s[20:21], vcc
	s_xor_b64 s[20:21], exec, s[20:21]
; %bb.11:                               ;   in Loop: Header=BB10_4 Depth=1
	v_ffbh_u32_e32 v8, v11
	v_xor_b32_e32 v10, 31, v8
	v_sub_u32_e32 v10, 9, v10
	v_lshlrev_b32_e32 v5, v10, v5
	v_lshlrev_b32_e32 v9, 31, v9
	;; [unrolled: 1-line block ×4, first 2 shown]
	v_and_or_b32 v5, v5, s24, v9
	v_sub_u32_e32 v5, v5, v8
	v_add_u32_e32 v8, 0x43000000, v5
; %bb.12:                               ;   in Loop: Header=BB10_4 Depth=1
	s_andn2_saveexec_b64 s[20:21], s[20:21]
	s_or_b64 exec, exec, s[20:21]
.LBB10_13:                              ;   in Loop: Header=BB10_4 Depth=1
	s_or_b64 exec, exec, s[18:19]
.LBB10_14:                              ;   in Loop: Header=BB10_4 Depth=1
	s_or_b64 exec, exec, s[0:1]
	v_add_co_u32_e32 v4, vcc, s16, v4
	v_addc_co_u32_e32 v5, vcc, 0, v6, vcc
	global_load_ushort v9, v[4:5], off offset:2
	s_waitcnt vmcnt(0)
	v_lshrrev_b16_e32 v12, 8, v9
	v_perm_b32 v10, v12, v9, s22
	v_lshrrev_b32_e32 v11, 7, v12
	v_bfe_u32 v12, v12, 2, 5
	v_cmp_lt_i32_e32 vcc, 30, v12
	v_lshlrev_b32_e32 v9, 31, v11
	s_and_saveexec_b64 s[0:1], vcc
	s_xor_b64 s[0:1], exec, s[0:1]
; %bb.15:                               ;   in Loop: Header=BB10_4 Depth=1
	v_lshlrev_b32_e32 v9, 31, v11
	v_lshlrev_b32_e32 v10, 13, v10
	v_or3_b32 v9, v10, v9, s23
                                        ; implicit-def: $vgpr10
                                        ; implicit-def: $vgpr12
                                        ; implicit-def: $vgpr11
; %bb.16:                               ;   in Loop: Header=BB10_4 Depth=1
	s_andn2_saveexec_b64 s[0:1], s[0:1]
	s_cbranch_execz .LBB10_24
; %bb.17:                               ;   in Loop: Header=BB10_4 Depth=1
	v_and_b32_e32 v13, 0x3ff, v10
	v_cmp_ne_u32_e32 vcc, 0, v12
	s_and_saveexec_b64 s[18:19], vcc
	s_xor_b64 s[18:19], exec, s[18:19]
; %bb.18:                               ;   in Loop: Header=BB10_4 Depth=1
	v_lshlrev_b32_e32 v9, 31, v11
	v_lshlrev_b32_e32 v10, 23, v12
	;; [unrolled: 1-line block ×3, first 2 shown]
	v_or3_b32 v9, v10, v9, v11
	v_add_u32_e32 v9, 0x38000000, v9
                                        ; implicit-def: $vgpr13
                                        ; implicit-def: $vgpr10
                                        ; implicit-def: $vgpr11
; %bb.19:                               ;   in Loop: Header=BB10_4 Depth=1
	s_andn2_saveexec_b64 s[18:19], s[18:19]
	s_cbranch_execz .LBB10_23
; %bb.20:                               ;   in Loop: Header=BB10_4 Depth=1
	v_cmp_ne_u32_e32 vcc, 0, v13
	s_and_saveexec_b64 s[20:21], vcc
	s_xor_b64 s[20:21], exec, s[20:21]
; %bb.21:                               ;   in Loop: Header=BB10_4 Depth=1
	v_ffbh_u32_e32 v9, v13
	v_xor_b32_e32 v12, 31, v9
	v_sub_u32_e32 v12, 9, v12
	v_lshlrev_b32_e32 v10, v12, v10
	v_lshlrev_b32_e32 v11, 31, v11
	;; [unrolled: 1-line block ×4, first 2 shown]
	v_and_or_b32 v10, v10, s24, v11
	v_sub_u32_e32 v9, v10, v9
	v_add_u32_e32 v9, 0x43000000, v9
; %bb.22:                               ;   in Loop: Header=BB10_4 Depth=1
	s_andn2_saveexec_b64 s[20:21], s[20:21]
	s_or_b64 exec, exec, s[20:21]
.LBB10_23:                              ;   in Loop: Header=BB10_4 Depth=1
	s_or_b64 exec, exec, s[18:19]
.LBB10_24:                              ;   in Loop: Header=BB10_4 Depth=1
	s_or_b64 exec, exec, s[0:1]
	global_load_dword v10, v[4:5], off offset:4
	v_and_b32_e32 v11, 31, v2
	v_add_co_u32_e64 v4, s[0:1], v4, v11
	v_cmp_lt_u32_e32 vcc, 15, v11
	v_addc_co_u32_e64 v5, s[0:1], 0, v5, s[0:1]
                                        ; implicit-def: $vgpr12
	s_and_saveexec_b64 s[0:1], vcc
	s_xor_b64 s[0:1], exec, s[0:1]
	s_cbranch_execz .LBB10_26
; %bb.25:                               ;   in Loop: Header=BB10_4 Depth=1
	global_load_ubyte v4, v[4:5], off offset:-8
	s_waitcnt vmcnt(0)
	v_lshrrev_b16_e32 v12, 4, v4
                                        ; implicit-def: $vgpr4_vgpr5
.LBB10_26:                              ;   in Loop: Header=BB10_4 Depth=1
	s_andn2_saveexec_b64 s[0:1], s[0:1]
	s_cbranch_execz .LBB10_3
; %bb.27:                               ;   in Loop: Header=BB10_4 Depth=1
	global_load_ubyte v4, v[4:5], off offset:8
	s_waitcnt vmcnt(0)
	v_and_b32_e32 v12, 15, v4
	s_branch .LBB10_3
.LBB10_28:
	s_or_b64 exec, exec, s[2:3]
.LBB10_29:
	s_or_b64 exec, exec, s[14:15]
	v_mbcnt_lo_u32_b32 v2, -1, 0
	v_mbcnt_hi_u32_b32 v4, -1, v2
	v_and_b32_e32 v6, 63, v4
	v_cmp_gt_u32_e32 vcc, 48, v6
	v_cndmask_b32_e64 v2, 0, 1, vcc
	v_lshlrev_b32_e32 v2, 4, v2
	v_add_lshl_u32 v2, v2, v4, 2
	ds_bpermute_b32 v3, v2, v1
	v_cmp_gt_u32_e32 vcc, 56, v6
	v_cndmask_b32_e64 v5, 0, 1, vcc
	v_lshlrev_b32_e32 v5, 3, v5
	v_cmp_gt_u32_e32 vcc, 60, v6
	s_waitcnt lgkmcnt(0)
	v_add_f32_e32 v3, v1, v3
	v_add_lshl_u32 v1, v5, v4, 2
	ds_bpermute_b32 v5, v1, v3
	v_cndmask_b32_e64 v7, 0, 1, vcc
	v_lshlrev_b32_e32 v7, 2, v7
	v_cmp_gt_u32_e32 vcc, 62, v6
	v_cndmask_b32_e64 v8, 0, 1, vcc
	s_waitcnt lgkmcnt(0)
	v_add_f32_e32 v5, v3, v5
	v_add_lshl_u32 v3, v7, v4, 2
	ds_bpermute_b32 v7, v3, v5
	v_lshlrev_b32_e32 v8, 1, v8
	v_cmp_ne_u32_e32 vcc, 63, v6
	v_addc_co_u32_e32 v6, vcc, 0, v4, vcc
	s_waitcnt lgkmcnt(0)
	v_add_f32_e32 v7, v5, v7
	v_add_lshl_u32 v5, v8, v4, 2
	ds_bpermute_b32 v8, v5, v7
	v_lshlrev_b32_e32 v6, 2, v6
	s_waitcnt lgkmcnt(0)
	v_add_f32_e32 v4, v7, v8
	ds_bpermute_b32 v8, v6, v4
	v_and_b32_e32 v7, 31, v0
	v_cmp_eq_u32_e32 vcc, 0, v7
	s_and_saveexec_b64 s[0:1], vcc
	s_cbranch_execz .LBB10_31
; %bb.30:
	s_waitcnt lgkmcnt(0)
	v_add_f32_e32 v4, v4, v8
	v_lshrrev_b32_e32 v8, 3, v0
	ds_write_b32 v8, v4
.LBB10_31:
	s_or_b64 exec, exec, s[0:1]
	s_waitcnt lgkmcnt(0)
	s_barrier
	s_load_dword s0, s[4:5], 0x3c
	v_mov_b32_e32 v4, 0
	s_waitcnt lgkmcnt(0)
	s_and_b32 s0, s0, 0xffff
	s_add_i32 s0, s0, 31
	s_lshr_b32 s0, s0, 5
	v_cmp_gt_u32_e32 vcc, s0, v0
	s_and_saveexec_b64 s[0:1], vcc
	s_cbranch_execz .LBB10_33
; %bb.32:
	v_lshlrev_b32_e32 v4, 2, v7
	ds_read_b32 v4, v4
.LBB10_33:
	s_or_b64 exec, exec, s[0:1]
	v_cmp_gt_u32_e32 vcc, 32, v0
	s_and_saveexec_b64 s[0:1], vcc
	s_cbranch_execz .LBB10_35
; %bb.34:
	s_waitcnt lgkmcnt(0)
	ds_bpermute_b32 v2, v2, v4
	s_waitcnt lgkmcnt(0)
	v_add_f32_e32 v2, v4, v2
	ds_bpermute_b32 v1, v1, v2
	s_waitcnt lgkmcnt(0)
	v_add_f32_e32 v1, v2, v1
	;; [unrolled: 3-line block ×5, first 2 shown]
.LBB10_35:
	s_or_b64 exec, exec, s[0:1]
	s_mov_b32 s1, 0
	v_cmp_eq_u32_e32 vcc, 0, v0
	s_and_saveexec_b64 s[2:3], vcc
	s_cbranch_execz .LBB10_39
; %bb.36:
	s_lshr_b32 s0, s8, 2
	s_add_i32 s0, s0, s6
	s_lshl_b64 s[0:1], s[0:1], 2
	s_add_u32 s0, s10, s0
	s_addc_u32 s1, s11, s1
	s_cmp_eq_u32 s9, 0
	s_cbranch_scc1 .LBB10_38
; %bb.37:
	s_load_dword s2, s[0:1], 0x0
	s_waitcnt lgkmcnt(0)
	v_add_f32_e32 v4, s2, v4
.LBB10_38:
	v_mov_b32_e32 v0, 0
	s_waitcnt lgkmcnt(0)
	global_store_dword v0, v4, s[0:1]
.LBB10_39:
	s_endpgm
	.section	.rodata,"a",@progbits
	.p2align	6, 0x0
	.amdhsa_kernel dmmv_q5_1
		.amdhsa_group_segment_fixed_size 128
		.amdhsa_private_segment_fixed_size 0
		.amdhsa_kernarg_size 304
		.amdhsa_user_sgpr_count 6
		.amdhsa_user_sgpr_private_segment_buffer 1
		.amdhsa_user_sgpr_dispatch_ptr 0
		.amdhsa_user_sgpr_queue_ptr 0
		.amdhsa_user_sgpr_kernarg_segment_ptr 1
		.amdhsa_user_sgpr_dispatch_id 0
		.amdhsa_user_sgpr_flat_scratch_init 0
		.amdhsa_user_sgpr_kernarg_preload_length 0
		.amdhsa_user_sgpr_kernarg_preload_offset 0
		.amdhsa_user_sgpr_private_segment_size 0
		.amdhsa_uses_dynamic_stack 0
		.amdhsa_system_sgpr_private_segment_wavefront_offset 0
		.amdhsa_system_sgpr_workgroup_id_x 1
		.amdhsa_system_sgpr_workgroup_id_y 0
		.amdhsa_system_sgpr_workgroup_id_z 0
		.amdhsa_system_sgpr_workgroup_info 0
		.amdhsa_system_vgpr_workitem_id 0
		.amdhsa_next_free_vgpr 14
		.amdhsa_next_free_sgpr 25
		.amdhsa_accum_offset 16
		.amdhsa_reserve_vcc 1
		.amdhsa_reserve_flat_scratch 0
		.amdhsa_float_round_mode_32 0
		.amdhsa_float_round_mode_16_64 0
		.amdhsa_float_denorm_mode_32 3
		.amdhsa_float_denorm_mode_16_64 3
		.amdhsa_dx10_clamp 1
		.amdhsa_ieee_mode 1
		.amdhsa_fp16_overflow 0
		.amdhsa_tg_split 0
		.amdhsa_exception_fp_ieee_invalid_op 0
		.amdhsa_exception_fp_denorm_src 0
		.amdhsa_exception_fp_ieee_div_zero 0
		.amdhsa_exception_fp_ieee_overflow 0
		.amdhsa_exception_fp_ieee_underflow 0
		.amdhsa_exception_fp_ieee_inexact 0
		.amdhsa_exception_int_div_zero 0
	.end_amdhsa_kernel
	.text
.Lfunc_end10:
	.size	dmmv_q5_1, .Lfunc_end10-dmmv_q5_1
                                        ; -- End function
	.section	.AMDGPU.csdata,"",@progbits
; Kernel info:
; codeLenInByte = 1308
; NumSgprs: 29
; NumVgprs: 14
; NumAgprs: 0
; TotalNumVgprs: 14
; ScratchSize: 0
; MemoryBound: 0
; FloatMode: 240
; IeeeMode: 1
; LDSByteSize: 128 bytes/workgroup (compile time only)
; SGPRBlocks: 3
; VGPRBlocks: 1
; NumSGPRsForWavesPerEU: 29
; NumVGPRsForWavesPerEU: 14
; AccumOffset: 16
; Occupancy: 8
; WaveLimiterHint : 0
; COMPUTE_PGM_RSRC2:SCRATCH_EN: 0
; COMPUTE_PGM_RSRC2:USER_SGPR: 6
; COMPUTE_PGM_RSRC2:TRAP_HANDLER: 0
; COMPUTE_PGM_RSRC2:TGID_X_EN: 1
; COMPUTE_PGM_RSRC2:TGID_Y_EN: 0
; COMPUTE_PGM_RSRC2:TGID_Z_EN: 0
; COMPUTE_PGM_RSRC2:TIDIG_COMP_CNT: 0
; COMPUTE_PGM_RSRC3_GFX90A:ACCUM_OFFSET: 3
; COMPUTE_PGM_RSRC3_GFX90A:TG_SPLIT: 0
	.text
	.protected	dmmv_q5k                ; -- Begin function dmmv_q5k
	.globl	dmmv_q5k
	.p2align	8
	.type	dmmv_q5k,@function
dmmv_q5k:                               ; @dmmv_q5k
; %bb.0:
	s_load_dwordx2 s[12:13], s[4:5], 0x18
	s_add_u32 s14, s4, 24
	s_addc_u32 s15, s5, 0
	s_waitcnt lgkmcnt(0)
	s_cmp_ge_u32 s6, s12
	s_cbranch_scc1 .LBB11_39
; %bb.1:
	s_load_dwordx2 s[10:11], s[4:5], 0x10
	s_load_dwordx4 s[0:3], s[4:5], 0x0
	s_load_dwordx2 s[8:9], s[14:15], 0x10
	v_cmp_gt_u32_e32 vcc, s13, v0
	v_mov_b32_e32 v1, 0
	s_and_saveexec_b64 s[14:15], vcc
	s_cbranch_execz .LBB11_29
; %bb.2:
	s_load_dwordx2 s[18:19], s[4:5], 0x20
	s_load_dword s20, s[4:5], 0x3c
	s_lshr_b32 s7, s13, 8
	s_mul_i32 s12, s6, s7
	s_mul_hi_u32 s7, s6, s7
	s_waitcnt lgkmcnt(0)
	s_add_u32 s0, s0, s18
	s_mulk_i32 s7, 0xb0
	s_mul_hi_u32 s16, s12, 0xb0
	s_addc_u32 s1, s1, 0
	s_add_i32 s7, s16, s7
	s_mulk_i32 s12, 0xb0
	s_add_u32 s16, s0, s12
	s_addc_u32 s17, s1, s7
	s_and_b32 s0, s19, -4
	s_add_u32 s7, s2, s0
	s_addc_u32 s12, s3, 0
	s_and_b32 s22, s20, 0xffff
	s_mov_b64 s[2:3], 0
	v_mov_b32_e32 v3, 0
	v_mov_b32_e32 v6, s17
	s_mov_b32 s23, 0x6050400
	s_mov_b32 s24, 0x7f800000
	s_mov_b32 s25, 0x7fc000
	v_mov_b32_e32 v1, 0
	v_mov_b32_e32 v2, v0
	s_branch .LBB11_4
.LBB11_3:                               ;   in Loop: Header=BB11_4 Depth=1
	s_or_b64 exec, exec, s[0:1]
	v_lshlrev_b64 v[4:5], 2, v[2:3]
	v_mov_b32_e32 v15, s12
	v_add_co_u32_e32 v4, vcc, s7, v4
	v_addc_co_u32_e32 v5, vcc, v15, v5, vcc
	global_load_dword v4, v[4:5], off
	s_waitcnt vmcnt(2)
	v_lshrrev_b32_e32 v5, 4, v9
	v_cmp_eq_u32_e32 vcc, 0, v12
	v_cndmask_b32_e32 v5, v5, v9, vcc
	s_waitcnt vmcnt(1)
	v_and_b32_e32 v9, 0xff, v10
	v_and_b32_e32 v5, 15, v5
	v_bfe_u32 v9, v9, v11, 1
	v_lshl_or_b32 v5, v9, 4, v5
	v_cvt_f32_ubyte0_e32 v9, v14
	v_mul_f32_e32 v7, v7, v9
	v_cvt_f32_ubyte0_e32 v9, v13
	v_cvt_f32_ubyte0_e32 v5, v5
	v_mul_f32_e32 v8, v8, v9
	v_add_u32_e32 v2, s22, v2
	v_fma_f32 v5, v7, v5, -v8
	v_cmp_le_u32_e32 vcc, s13, v2
	s_or_b64 s[2:3], vcc, s[2:3]
	s_waitcnt vmcnt(0)
	v_fmac_f32_e32 v1, v4, v5
	s_andn2_b64 exec, exec, s[2:3]
	s_cbranch_execz .LBB11_28
.LBB11_4:                               ; =>This Inner Loop Header: Depth=1
	v_lshrrev_b32_e32 v4, 8, v2
	v_mul_u32_u24_e32 v4, 0xb0, v4
	global_load_ushort v5, v4, s[16:17]
	s_waitcnt vmcnt(0)
	v_lshrrev_b16_e32 v7, 8, v5
	v_lshrrev_b32_e32 v8, 7, v7
	v_bfe_u32 v9, v7, 2, 5
	v_perm_b32 v5, v7, v5, s23
	v_cmp_lt_i32_e32 vcc, 30, v9
	v_lshlrev_b32_e32 v7, 31, v8
	s_and_saveexec_b64 s[0:1], vcc
	s_xor_b64 s[0:1], exec, s[0:1]
; %bb.5:                                ;   in Loop: Header=BB11_4 Depth=1
	v_lshlrev_b32_e32 v7, 31, v8
	v_lshlrev_b32_e32 v5, 13, v5
	v_or3_b32 v7, v5, v7, s24
                                        ; implicit-def: $vgpr5
                                        ; implicit-def: $vgpr9
                                        ; implicit-def: $vgpr8
; %bb.6:                                ;   in Loop: Header=BB11_4 Depth=1
	s_andn2_saveexec_b64 s[0:1], s[0:1]
	s_cbranch_execz .LBB11_14
; %bb.7:                                ;   in Loop: Header=BB11_4 Depth=1
	v_and_b32_e32 v10, 0x3ff, v5
	v_cmp_ne_u32_e32 vcc, 0, v9
	s_and_saveexec_b64 s[18:19], vcc
	s_xor_b64 s[18:19], exec, s[18:19]
; %bb.8:                                ;   in Loop: Header=BB11_4 Depth=1
	v_lshlrev_b32_e32 v5, 31, v8
	v_lshlrev_b32_e32 v7, 23, v9
	;; [unrolled: 1-line block ×3, first 2 shown]
	v_or3_b32 v5, v7, v5, v8
	v_add_u32_e32 v7, 0x38000000, v5
                                        ; implicit-def: $vgpr10
                                        ; implicit-def: $vgpr5
                                        ; implicit-def: $vgpr8
; %bb.9:                                ;   in Loop: Header=BB11_4 Depth=1
	s_andn2_saveexec_b64 s[18:19], s[18:19]
	s_cbranch_execz .LBB11_13
; %bb.10:                               ;   in Loop: Header=BB11_4 Depth=1
	v_cmp_ne_u32_e32 vcc, 0, v10
	s_and_saveexec_b64 s[20:21], vcc
	s_xor_b64 s[20:21], exec, s[20:21]
; %bb.11:                               ;   in Loop: Header=BB11_4 Depth=1
	v_ffbh_u32_e32 v7, v10
	v_xor_b32_e32 v9, 31, v7
	v_sub_u32_e32 v9, 9, v9
	v_lshlrev_b32_e32 v5, v9, v5
	v_lshlrev_b32_e32 v8, 31, v8
	;; [unrolled: 1-line block ×4, first 2 shown]
	v_and_or_b32 v5, v5, s25, v8
	v_sub_u32_e32 v5, v5, v7
	v_add_u32_e32 v7, 0x43000000, v5
; %bb.12:                               ;   in Loop: Header=BB11_4 Depth=1
	s_andn2_saveexec_b64 s[20:21], s[20:21]
	s_or_b64 exec, exec, s[20:21]
.LBB11_13:                              ;   in Loop: Header=BB11_4 Depth=1
	s_or_b64 exec, exec, s[18:19]
.LBB11_14:                              ;   in Loop: Header=BB11_4 Depth=1
	s_or_b64 exec, exec, s[0:1]
	v_add_co_u32_e32 v4, vcc, s16, v4
	v_addc_co_u32_e32 v5, vcc, 0, v6, vcc
	global_load_ushort v8, v[4:5], off offset:2
	s_waitcnt vmcnt(0)
	v_lshrrev_b16_e32 v11, 8, v8
	v_perm_b32 v9, v11, v8, s23
	v_lshrrev_b32_e32 v10, 7, v11
	v_bfe_u32 v11, v11, 2, 5
	v_cmp_lt_i32_e32 vcc, 30, v11
	v_lshlrev_b32_e32 v8, 31, v10
	s_and_saveexec_b64 s[0:1], vcc
	s_xor_b64 s[0:1], exec, s[0:1]
; %bb.15:                               ;   in Loop: Header=BB11_4 Depth=1
	v_lshlrev_b32_e32 v8, 31, v10
	v_lshlrev_b32_e32 v9, 13, v9
	v_or3_b32 v8, v9, v8, s24
                                        ; implicit-def: $vgpr9
                                        ; implicit-def: $vgpr11
                                        ; implicit-def: $vgpr10
; %bb.16:                               ;   in Loop: Header=BB11_4 Depth=1
	s_andn2_saveexec_b64 s[0:1], s[0:1]
	s_cbranch_execz .LBB11_24
; %bb.17:                               ;   in Loop: Header=BB11_4 Depth=1
	v_and_b32_e32 v12, 0x3ff, v9
	v_cmp_ne_u32_e32 vcc, 0, v11
	s_and_saveexec_b64 s[18:19], vcc
	s_xor_b64 s[18:19], exec, s[18:19]
; %bb.18:                               ;   in Loop: Header=BB11_4 Depth=1
	v_lshlrev_b32_e32 v8, 31, v10
	v_lshlrev_b32_e32 v9, 23, v11
	;; [unrolled: 1-line block ×3, first 2 shown]
	v_or3_b32 v8, v9, v8, v10
	v_add_u32_e32 v8, 0x38000000, v8
                                        ; implicit-def: $vgpr12
                                        ; implicit-def: $vgpr9
                                        ; implicit-def: $vgpr10
; %bb.19:                               ;   in Loop: Header=BB11_4 Depth=1
	s_andn2_saveexec_b64 s[18:19], s[18:19]
	s_cbranch_execz .LBB11_23
; %bb.20:                               ;   in Loop: Header=BB11_4 Depth=1
	v_cmp_ne_u32_e32 vcc, 0, v12
	s_and_saveexec_b64 s[20:21], vcc
	s_xor_b64 s[20:21], exec, s[20:21]
; %bb.21:                               ;   in Loop: Header=BB11_4 Depth=1
	v_ffbh_u32_e32 v8, v12
	v_xor_b32_e32 v11, 31, v8
	v_sub_u32_e32 v11, 9, v11
	v_lshlrev_b32_e32 v9, v11, v9
	v_lshlrev_b32_e32 v10, 31, v10
	;; [unrolled: 1-line block ×4, first 2 shown]
	v_and_or_b32 v9, v9, s25, v10
	v_sub_u32_e32 v8, v9, v8
	v_add_u32_e32 v8, 0x43000000, v8
; %bb.22:                               ;   in Loop: Header=BB11_4 Depth=1
	s_andn2_saveexec_b64 s[20:21], s[20:21]
	s_or_b64 exec, exec, s[20:21]
.LBB11_23:                              ;   in Loop: Header=BB11_4 Depth=1
	s_or_b64 exec, exec, s[18:19]
.LBB11_24:                              ;   in Loop: Header=BB11_4 Depth=1
	s_or_b64 exec, exec, s[0:1]
	v_bfe_u32 v16, v2, 6, 2
	v_and_b32_e32 v9, 31, v2
	v_lshl_or_b32 v10, v16, 5, v9
	v_add_co_u32_e32 v12, vcc, v4, v10
	v_addc_co_u32_e32 v13, vcc, 0, v5, vcc
	v_add_co_u32_e32 v14, vcc, v4, v9
	v_addc_co_u32_e32 v15, vcc, 0, v5, vcc
	global_load_ubyte v9, v[12:13], off offset:48
	global_load_ubyte v10, v[14:15], off offset:16
	v_bfe_u32 v12, v2, 5, 1
	v_lshl_or_b32 v11, v16, 1, v12
	v_add_co_u32_e64 v4, s[0:1], v4, v11
	v_cmp_lt_u32_e32 vcc, 1, v16
	v_addc_co_u32_e64 v5, s[0:1], 0, v5, s[0:1]
                                        ; implicit-def: $vgpr13
                                        ; implicit-def: $vgpr14
	s_and_saveexec_b64 s[0:1], vcc
	s_xor_b64 s[0:1], exec, s[0:1]
	s_cbranch_execz .LBB11_26
; %bb.25:                               ;   in Loop: Header=BB11_4 Depth=1
	global_load_ubyte v13, v[4:5], off offset:8
	global_load_ubyte v14, v[4:5], off
	global_load_ubyte v15, v[4:5], off offset:4
	s_waitcnt vmcnt(2)
	v_and_b32_e32 v4, 15, v13
	s_waitcnt vmcnt(1)
	v_lshrrev_b16_e32 v5, 2, v14
	s_waitcnt vmcnt(0)
	v_lshrrev_b16_e32 v14, 2, v15
	v_lshrrev_b16_e32 v13, 4, v13
	v_and_b32_e32 v5, 48, v5
	v_and_b32_e32 v15, 48, v14
	v_or_b32_e32 v14, v5, v4
	v_or_b32_e32 v13, v15, v13
                                        ; implicit-def: $vgpr4_vgpr5
.LBB11_26:                              ;   in Loop: Header=BB11_4 Depth=1
	s_andn2_saveexec_b64 s[0:1], s[0:1]
	s_cbranch_execz .LBB11_3
; %bb.27:                               ;   in Loop: Header=BB11_4 Depth=1
	global_load_ubyte v13, v[4:5], off offset:4
	global_load_ubyte v15, v[4:5], off offset:8
	s_waitcnt vmcnt(1)
	v_and_b32_e32 v14, 63, v13
	s_waitcnt vmcnt(0)
	v_and_b32_e32 v13, 63, v15
	s_branch .LBB11_3
.LBB11_28:
	s_or_b64 exec, exec, s[2:3]
.LBB11_29:
	s_or_b64 exec, exec, s[14:15]
	v_mbcnt_lo_u32_b32 v2, -1, 0
	v_mbcnt_hi_u32_b32 v4, -1, v2
	v_and_b32_e32 v6, 63, v4
	v_cmp_gt_u32_e32 vcc, 48, v6
	v_cndmask_b32_e64 v2, 0, 1, vcc
	v_lshlrev_b32_e32 v2, 4, v2
	v_add_lshl_u32 v2, v2, v4, 2
	ds_bpermute_b32 v3, v2, v1
	v_cmp_gt_u32_e32 vcc, 56, v6
	v_cndmask_b32_e64 v5, 0, 1, vcc
	v_lshlrev_b32_e32 v5, 3, v5
	v_cmp_gt_u32_e32 vcc, 60, v6
	s_waitcnt lgkmcnt(0)
	v_add_f32_e32 v3, v1, v3
	v_add_lshl_u32 v1, v5, v4, 2
	ds_bpermute_b32 v5, v1, v3
	v_cndmask_b32_e64 v7, 0, 1, vcc
	v_lshlrev_b32_e32 v7, 2, v7
	v_cmp_gt_u32_e32 vcc, 62, v6
	v_cndmask_b32_e64 v8, 0, 1, vcc
	s_waitcnt lgkmcnt(0)
	v_add_f32_e32 v5, v3, v5
	v_add_lshl_u32 v3, v7, v4, 2
	ds_bpermute_b32 v7, v3, v5
	v_lshlrev_b32_e32 v8, 1, v8
	v_cmp_ne_u32_e32 vcc, 63, v6
	v_addc_co_u32_e32 v6, vcc, 0, v4, vcc
	s_waitcnt lgkmcnt(0)
	v_add_f32_e32 v7, v5, v7
	v_add_lshl_u32 v5, v8, v4, 2
	ds_bpermute_b32 v8, v5, v7
	v_lshlrev_b32_e32 v6, 2, v6
	s_waitcnt lgkmcnt(0)
	v_add_f32_e32 v4, v7, v8
	ds_bpermute_b32 v8, v6, v4
	v_and_b32_e32 v7, 31, v0
	v_cmp_eq_u32_e32 vcc, 0, v7
	s_and_saveexec_b64 s[0:1], vcc
	s_cbranch_execz .LBB11_31
; %bb.30:
	s_waitcnt lgkmcnt(0)
	v_add_f32_e32 v4, v4, v8
	v_lshrrev_b32_e32 v8, 3, v0
	ds_write_b32 v8, v4
.LBB11_31:
	s_or_b64 exec, exec, s[0:1]
	s_waitcnt lgkmcnt(0)
	s_barrier
	s_load_dword s0, s[4:5], 0x3c
	v_mov_b32_e32 v4, 0
	s_waitcnt lgkmcnt(0)
	s_and_b32 s0, s0, 0xffff
	s_add_i32 s0, s0, 31
	s_lshr_b32 s0, s0, 5
	v_cmp_gt_u32_e32 vcc, s0, v0
	s_and_saveexec_b64 s[0:1], vcc
	s_cbranch_execz .LBB11_33
; %bb.32:
	v_lshlrev_b32_e32 v4, 2, v7
	ds_read_b32 v4, v4
.LBB11_33:
	s_or_b64 exec, exec, s[0:1]
	v_cmp_gt_u32_e32 vcc, 32, v0
	s_and_saveexec_b64 s[0:1], vcc
	s_cbranch_execz .LBB11_35
; %bb.34:
	s_waitcnt lgkmcnt(0)
	ds_bpermute_b32 v2, v2, v4
	s_waitcnt lgkmcnt(0)
	v_add_f32_e32 v2, v4, v2
	ds_bpermute_b32 v1, v1, v2
	s_waitcnt lgkmcnt(0)
	v_add_f32_e32 v1, v2, v1
	;; [unrolled: 3-line block ×5, first 2 shown]
.LBB11_35:
	s_or_b64 exec, exec, s[0:1]
	s_mov_b32 s1, 0
	v_cmp_eq_u32_e32 vcc, 0, v0
	s_and_saveexec_b64 s[2:3], vcc
	s_cbranch_execz .LBB11_39
; %bb.36:
	s_lshr_b32 s0, s8, 2
	s_add_i32 s0, s0, s6
	s_lshl_b64 s[0:1], s[0:1], 2
	s_add_u32 s0, s10, s0
	s_addc_u32 s1, s11, s1
	s_cmp_eq_u32 s9, 0
	s_cbranch_scc1 .LBB11_38
; %bb.37:
	s_load_dword s2, s[0:1], 0x0
	s_waitcnt lgkmcnt(0)
	v_add_f32_e32 v4, s2, v4
.LBB11_38:
	v_mov_b32_e32 v0, 0
	s_waitcnt lgkmcnt(0)
	global_store_dword v0, v4, s[0:1]
.LBB11_39:
	s_endpgm
	.section	.rodata,"a",@progbits
	.p2align	6, 0x0
	.amdhsa_kernel dmmv_q5k
		.amdhsa_group_segment_fixed_size 128
		.amdhsa_private_segment_fixed_size 0
		.amdhsa_kernarg_size 304
		.amdhsa_user_sgpr_count 6
		.amdhsa_user_sgpr_private_segment_buffer 1
		.amdhsa_user_sgpr_dispatch_ptr 0
		.amdhsa_user_sgpr_queue_ptr 0
		.amdhsa_user_sgpr_kernarg_segment_ptr 1
		.amdhsa_user_sgpr_dispatch_id 0
		.amdhsa_user_sgpr_flat_scratch_init 0
		.amdhsa_user_sgpr_kernarg_preload_length 0
		.amdhsa_user_sgpr_kernarg_preload_offset 0
		.amdhsa_user_sgpr_private_segment_size 0
		.amdhsa_uses_dynamic_stack 0
		.amdhsa_system_sgpr_private_segment_wavefront_offset 0
		.amdhsa_system_sgpr_workgroup_id_x 1
		.amdhsa_system_sgpr_workgroup_id_y 0
		.amdhsa_system_sgpr_workgroup_id_z 0
		.amdhsa_system_sgpr_workgroup_info 0
		.amdhsa_system_vgpr_workitem_id 0
		.amdhsa_next_free_vgpr 17
		.amdhsa_next_free_sgpr 26
		.amdhsa_accum_offset 20
		.amdhsa_reserve_vcc 1
		.amdhsa_reserve_flat_scratch 0
		.amdhsa_float_round_mode_32 0
		.amdhsa_float_round_mode_16_64 0
		.amdhsa_float_denorm_mode_32 3
		.amdhsa_float_denorm_mode_16_64 3
		.amdhsa_dx10_clamp 1
		.amdhsa_ieee_mode 1
		.amdhsa_fp16_overflow 0
		.amdhsa_tg_split 0
		.amdhsa_exception_fp_ieee_invalid_op 0
		.amdhsa_exception_fp_denorm_src 0
		.amdhsa_exception_fp_ieee_div_zero 0
		.amdhsa_exception_fp_ieee_overflow 0
		.amdhsa_exception_fp_ieee_underflow 0
		.amdhsa_exception_fp_ieee_inexact 0
		.amdhsa_exception_int_div_zero 0
	.end_amdhsa_kernel
	.text
.Lfunc_end11:
	.size	dmmv_q5k, .Lfunc_end11-dmmv_q5k
                                        ; -- End function
	.section	.AMDGPU.csdata,"",@progbits
; Kernel info:
; codeLenInByte = 1484
; NumSgprs: 30
; NumVgprs: 17
; NumAgprs: 0
; TotalNumVgprs: 17
; ScratchSize: 0
; MemoryBound: 0
; FloatMode: 240
; IeeeMode: 1
; LDSByteSize: 128 bytes/workgroup (compile time only)
; SGPRBlocks: 3
; VGPRBlocks: 2
; NumSGPRsForWavesPerEU: 30
; NumVGPRsForWavesPerEU: 17
; AccumOffset: 20
; Occupancy: 8
; WaveLimiterHint : 0
; COMPUTE_PGM_RSRC2:SCRATCH_EN: 0
; COMPUTE_PGM_RSRC2:USER_SGPR: 6
; COMPUTE_PGM_RSRC2:TRAP_HANDLER: 0
; COMPUTE_PGM_RSRC2:TGID_X_EN: 1
; COMPUTE_PGM_RSRC2:TGID_Y_EN: 0
; COMPUTE_PGM_RSRC2:TGID_Z_EN: 0
; COMPUTE_PGM_RSRC2:TIDIG_COMP_CNT: 0
; COMPUTE_PGM_RSRC3_GFX90A:ACCUM_OFFSET: 4
; COMPUTE_PGM_RSRC3_GFX90A:TG_SPLIT: 0
	.text
	.protected	dmmv_q6k                ; -- Begin function dmmv_q6k
	.globl	dmmv_q6k
	.p2align	8
	.type	dmmv_q6k,@function
dmmv_q6k:                               ; @dmmv_q6k
; %bb.0:
	s_load_dwordx2 s[12:13], s[4:5], 0x18
	s_add_u32 s10, s4, 24
	s_addc_u32 s11, s5, 0
	s_waitcnt lgkmcnt(0)
	s_cmp_ge_u32 s6, s12
	s_cbranch_scc1 .LBB12_63
; %bb.1:
	s_load_dwordx4 s[0:3], s[4:5], 0x0
	s_load_dwordx2 s[8:9], s[4:5], 0x10
	v_cmp_le_u32_e32 vcc, s13, v0
	v_and_b32_e32 v2, 31, v0
                                        ; implicit-def: $sgpr7
	s_and_saveexec_b64 s[14:15], vcc
	s_xor_b64 s[14:15], exec, s[14:15]
; %bb.2:
	v_and_b32_e32 v2, 31, v0
	s_mov_b32 s7, 0
; %bb.3:
	s_or_saveexec_b64 s[14:15], s[14:15]
	s_load_dwordx2 s[10:11], s[10:11], 0x10
	v_mov_b32_e32 v1, s7
	s_xor_b64 exec, exec, s[14:15]
	s_cbranch_execz .LBB12_53
; %bb.4:
	s_load_dwordx2 s[16:17], s[4:5], 0x20
	s_lshr_b32 s7, s13, 8
	s_mul_i32 s12, s6, s7
	s_mul_hi_u32 s7, s6, s7
	s_mulk_i32 s7, 0xd2
	s_waitcnt lgkmcnt(0)
	s_add_u32 s0, s0, s16
	s_mul_hi_u32 s16, s12, 0xd2
	s_addc_u32 s1, s1, 0
	s_add_i32 s16, s16, s7
	s_mulk_i32 s12, 0xd2
	s_add_u32 s0, s0, s12
	v_lshrrev_b32_e32 v1, 8, v0
	s_addc_u32 s1, s1, s16
	v_mul_u32_u24_e32 v4, 0xd2, v1
	global_load_ushort v1, v4, s[0:1] offset:208
	s_mov_b32 s7, 0x6050400
	v_mov_b32_e32 v5, s1
	s_waitcnt vmcnt(0)
	v_lshrrev_b16_e32 v7, 8, v1
	v_perm_b32 v3, v7, v1, s7
	v_lshrrev_b32_e32 v6, 7, v7
	v_bfe_u32 v7, v7, 2, 5
	v_cmp_lt_i32_e32 vcc, 30, v7
	v_lshlrev_b32_e32 v1, 31, v6
	s_and_saveexec_b64 s[18:19], vcc
	s_xor_b64 s[18:19], exec, s[18:19]
; %bb.5:
	v_lshlrev_b32_e32 v1, 31, v6
	v_lshlrev_b32_e32 v3, 13, v3
	s_mov_b32 s7, 0x7f800000
	v_or3_b32 v1, v3, v1, s7
                                        ; implicit-def: $vgpr3
                                        ; implicit-def: $vgpr7
                                        ; implicit-def: $vgpr6
; %bb.6:
	s_or_saveexec_b64 s[18:19], s[18:19]
	v_add_co_u32_e32 v4, vcc, s0, v4
	v_addc_co_u32_e32 v5, vcc, 0, v5, vcc
	s_xor_b64 exec, exec, s[18:19]
	s_cbranch_execz .LBB12_14
; %bb.7:
	v_and_b32_e32 v8, 0x3ff, v3
	v_cmp_ne_u32_e32 vcc, 0, v7
	s_and_saveexec_b64 s[20:21], vcc
	s_xor_b64 s[20:21], exec, s[20:21]
; %bb.8:
	v_lshlrev_b32_e32 v1, 31, v6
	v_lshlrev_b32_e32 v3, 23, v7
	;; [unrolled: 1-line block ×3, first 2 shown]
	v_or3_b32 v1, v3, v1, v6
	v_add_u32_e32 v1, 0x38000000, v1
                                        ; implicit-def: $vgpr8
                                        ; implicit-def: $vgpr3
                                        ; implicit-def: $vgpr6
; %bb.9:
	s_andn2_saveexec_b64 s[20:21], s[20:21]
	s_cbranch_execz .LBB12_13
; %bb.10:
	v_cmp_ne_u32_e32 vcc, 0, v8
	s_and_saveexec_b64 s[22:23], vcc
	s_xor_b64 s[22:23], exec, s[22:23]
; %bb.11:
	v_ffbh_u32_e32 v1, v8
	v_xor_b32_e32 v7, 31, v1
	v_sub_u32_e32 v7, 9, v7
	v_lshlrev_b32_e32 v3, v7, v3
	v_lshlrev_b32_e32 v6, 31, v6
	;; [unrolled: 1-line block ×3, first 2 shown]
	s_mov_b32 s7, 0x7fc000
	v_lshlrev_b32_e32 v1, 23, v1
	v_and_or_b32 v3, v3, s7, v6
	v_sub_u32_e32 v1, v3, v1
	v_add_u32_e32 v1, 0x43000000, v1
; %bb.12:
	s_andn2_saveexec_b64 s[22:23], s[22:23]
	s_or_b64 exec, exec, s[22:23]
.LBB12_13:
	s_or_b64 exec, exec, s[20:21]
.LBB12_14:
	s_or_b64 exec, exec, s[18:19]
	v_bfe_u32 v3, v0, 7, 1
	v_lshlrev_b32_e32 v6, 6, v3
	v_add_co_u32_e32 v9, vcc, v4, v6
	v_addc_co_u32_e32 v10, vcc, 0, v5, vcc
	v_lshlrev_b32_e32 v4, 5, v3
	v_sub_co_u32_e32 v4, vcc, v9, v4
	v_subbrev_co_u32_e32 v5, vcc, 0, v10, vcc
	v_add_co_u32_e32 v6, vcc, v4, v2
	v_addc_co_u32_e32 v7, vcc, 0, v5, vcc
	global_load_ubyte v8, v[6:7], off offset:128
	v_bfe_u32 v11, v0, 5, 2
	v_bfe_u32 v6, v0, 4, 1
	v_cmp_lt_i32_e32 vcc, 1, v11
                                        ; implicit-def: $vgpr7
	s_and_saveexec_b64 s[18:19], vcc
	s_xor_b64 s[18:19], exec, s[18:19]
	s_cbranch_execz .LBB12_20
; %bb.15:
	v_cmp_lt_i32_e32 vcc, 2, v11
                                        ; implicit-def: $vgpr7
	s_and_saveexec_b64 s[20:21], vcc
	s_xor_b64 s[20:21], exec, s[20:21]
	s_cbranch_execz .LBB12_17
; %bb.16:
	v_add_co_u32_e32 v12, vcc, v9, v2
	v_addc_co_u32_e32 v13, vcc, 0, v10, vcc
	global_load_ubyte v7, v[12:13], off offset:32
	s_waitcnt vmcnt(1)
	v_lshrrev_b32_e32 v8, 2, v8
	v_or_b32_e32 v6, 6, v6
                                        ; implicit-def: $vgpr9
                                        ; implicit-def: $vgpr10
	s_waitcnt vmcnt(0)
	v_lshrrev_b16_e32 v7, 4, v7
	v_and_or_b32 v7, v8, 48, v7
                                        ; implicit-def: $vgpr8
.LBB12_17:
	s_andn2_saveexec_b64 s[20:21], s[20:21]
	s_cbranch_execz .LBB12_19
; %bb.18:
	v_add_co_u32_e32 v12, vcc, v9, v2
	v_addc_co_u32_e32 v13, vcc, 0, v10, vcc
	global_load_ubyte v7, v[12:13], off
	v_or_b32_e32 v6, 4, v6
	s_waitcnt vmcnt(0)
	v_lshrrev_b16_e32 v7, 4, v7
	v_and_or_b32 v7, v8, 48, v7
.LBB12_19:
	s_or_b64 exec, exec, s[20:21]
                                        ; implicit-def: $vgpr9
                                        ; implicit-def: $vgpr10
                                        ; implicit-def: $vgpr8
                                        ; implicit-def: $vgpr11
.LBB12_20:
	s_andn2_saveexec_b64 s[18:19], s[18:19]
	s_cbranch_execz .LBB12_26
; %bb.21:
	v_cmp_ne_u32_e32 vcc, 1, v11
                                        ; implicit-def: $vgpr7
	s_and_saveexec_b64 s[20:21], vcc
	s_xor_b64 s[20:21], exec, s[20:21]
	s_cbranch_execz .LBB12_23
; %bb.22:
	v_add_co_u32_e32 v12, vcc, v9, v2
	v_addc_co_u32_e32 v13, vcc, 0, v10, vcc
	global_load_ubyte v7, v[12:13], off
	s_waitcnt vmcnt(1)
	v_lshlrev_b32_e32 v8, 4, v8
                                        ; implicit-def: $vgpr9
                                        ; implicit-def: $vgpr10
	s_waitcnt vmcnt(0)
	v_and_b32_e32 v7, 15, v7
	v_and_or_b32 v7, v8, 48, v7
                                        ; implicit-def: $vgpr8
.LBB12_23:
	s_andn2_saveexec_b64 s[20:21], s[20:21]
	s_cbranch_execz .LBB12_25
; %bb.24:
	v_add_co_u32_e32 v12, vcc, v9, v2
	v_addc_co_u32_e32 v13, vcc, 0, v10, vcc
	global_load_ubyte v7, v[12:13], off offset:32
	s_waitcnt vmcnt(1)
	v_lshlrev_b32_e32 v8, 2, v8
	v_or_b32_e32 v6, 2, v6
	s_waitcnt vmcnt(0)
	v_and_b32_e32 v7, 15, v7
	v_and_or_b32 v7, v8, 48, v7
.LBB12_25:
	s_or_b64 exec, exec, s[20:21]
.LBB12_26:
	s_or_b64 exec, exec, s[18:19]
	s_waitcnt vmcnt(0)
	v_mul_hi_i32_i24_e32 v8, 0xffffffe8, v3
	v_mul_i32_i24_e32 v3, 0xffffffe8, v3
	v_add_co_u32_e32 v3, vcc, v4, v3
	v_addc_co_u32_e32 v5, vcc, v5, v8, vcc
	v_add_co_u32_e32 v4, vcc, v3, v6
	v_addc_co_u32_e32 v5, vcc, 0, v5, vcc
	global_load_sbyte v3, v[4:5], off offset:192
	s_and_b32 s7, s17, -4
	s_add_u32 s2, s2, s7
	s_addc_u32 s3, s3, 0
	v_lshlrev_b32_e32 v4, 2, v0
	global_load_dword v5, v4, s[2:3]
	s_load_dword s7, s[4:5], 0x3c
	v_cvt_f32_u32_e32 v4, v7
	v_add_f32_e32 v6, 0xc2000000, v4
	s_waitcnt lgkmcnt(0)
	s_and_b32 s7, s7, 0xffff
	v_add_u32_e32 v4, s7, v0
	v_cmp_gt_u32_e32 vcc, s13, v4
	s_waitcnt vmcnt(1)
	v_cvt_f32_i32_e32 v3, v3
	v_mul_f32_e32 v1, v1, v3
	v_mul_f32_e32 v1, v6, v1
	s_waitcnt vmcnt(0)
	v_fma_f32 v1, v5, v1, 0
	s_and_saveexec_b64 s[16:17], vcc
	s_cbranch_execz .LBB12_52
; %bb.27:
	s_mov_b64 s[18:19], 0
	v_mov_b32_e32 v3, s1
	s_mov_b32 s12, 0x6050400
	s_mov_b32 s26, 0x7f800000
	s_mov_b32 s27, 0x7fc000
	v_mov_b32_e32 v5, 0
	s_branch .LBB12_30
.LBB12_28:                              ;   in Loop: Header=BB12_30 Depth=1
	s_or_b64 exec, exec, s[22:23]
.LBB12_29:                              ;   in Loop: Header=BB12_30 Depth=1
	s_or_b64 exec, exec, s[20:21]
	s_waitcnt vmcnt(0)
	v_mul_i32_i24_e32 v7, 0xffffffe8, v9
	v_mul_hi_i32_i24_e32 v6, 0xffffffe8, v9
	v_add_co_u32_e32 v7, vcc, v10, v7
	v_addc_co_u32_e32 v9, vcc, v11, v6, vcc
	v_add_co_u32_e32 v6, vcc, v7, v12
	v_addc_co_u32_e32 v7, vcc, 0, v9, vcc
	global_load_sbyte v9, v[6:7], off offset:192
	v_lshlrev_b64 v[6:7], 2, v[4:5]
	v_mov_b32_e32 v10, s3
	v_add_co_u32_e32 v6, vcc, s2, v6
	v_addc_co_u32_e32 v7, vcc, v10, v7, vcc
	global_load_dword v6, v[6:7], off
	v_cvt_f32_u32_e32 v7, v13
	v_add_u32_e32 v4, s7, v4
	v_cmp_le_u32_e32 vcc, s13, v4
	s_or_b64 s[18:19], vcc, s[18:19]
	v_add_f32_e32 v7, 0xc2000000, v7
	s_waitcnt vmcnt(1)
	v_cvt_f32_i32_e32 v9, v9
	v_mul_f32_e32 v8, v8, v9
	v_mul_f32_e32 v7, v7, v8
	s_waitcnt vmcnt(0)
	v_fmac_f32_e32 v1, v6, v7
	s_andn2_b64 exec, exec, s[18:19]
	s_cbranch_execz .LBB12_51
.LBB12_30:                              ; =>This Inner Loop Header: Depth=1
	v_lshrrev_b32_e32 v6, 8, v4
	v_mul_u32_u24_e32 v6, 0xd2, v6
	global_load_ushort v7, v6, s[0:1] offset:208
	s_waitcnt vmcnt(0)
	v_lshrrev_b16_e32 v8, 8, v7
	v_lshrrev_b32_e32 v9, 7, v8
	v_bfe_u32 v10, v8, 2, 5
	v_perm_b32 v7, v8, v7, s12
	v_cmp_lt_i32_e32 vcc, 30, v10
	v_lshlrev_b32_e32 v8, 31, v9
	s_and_saveexec_b64 s[20:21], vcc
	s_xor_b64 s[20:21], exec, s[20:21]
; %bb.31:                               ;   in Loop: Header=BB12_30 Depth=1
	v_lshlrev_b32_e32 v8, 31, v9
	v_lshlrev_b32_e32 v7, 13, v7
	v_or3_b32 v8, v7, v8, s26
                                        ; implicit-def: $vgpr7
                                        ; implicit-def: $vgpr10
                                        ; implicit-def: $vgpr9
; %bb.32:                               ;   in Loop: Header=BB12_30 Depth=1
	s_andn2_saveexec_b64 s[20:21], s[20:21]
	s_cbranch_execz .LBB12_40
; %bb.33:                               ;   in Loop: Header=BB12_30 Depth=1
	v_and_b32_e32 v11, 0x3ff, v7
	v_cmp_ne_u32_e32 vcc, 0, v10
	s_and_saveexec_b64 s[22:23], vcc
	s_xor_b64 s[22:23], exec, s[22:23]
; %bb.34:                               ;   in Loop: Header=BB12_30 Depth=1
	v_lshlrev_b32_e32 v7, 31, v9
	v_lshlrev_b32_e32 v8, 23, v10
	;; [unrolled: 1-line block ×3, first 2 shown]
	v_or3_b32 v7, v8, v7, v9
	v_add_u32_e32 v8, 0x38000000, v7
                                        ; implicit-def: $vgpr11
                                        ; implicit-def: $vgpr7
                                        ; implicit-def: $vgpr9
; %bb.35:                               ;   in Loop: Header=BB12_30 Depth=1
	s_andn2_saveexec_b64 s[22:23], s[22:23]
	s_cbranch_execz .LBB12_39
; %bb.36:                               ;   in Loop: Header=BB12_30 Depth=1
	v_cmp_ne_u32_e32 vcc, 0, v11
	s_and_saveexec_b64 s[24:25], vcc
	s_xor_b64 s[24:25], exec, s[24:25]
; %bb.37:                               ;   in Loop: Header=BB12_30 Depth=1
	v_ffbh_u32_e32 v8, v11
	v_xor_b32_e32 v10, 31, v8
	v_sub_u32_e32 v10, 9, v10
	v_lshlrev_b32_e32 v7, v10, v7
	v_lshlrev_b32_e32 v9, 31, v9
	;; [unrolled: 1-line block ×4, first 2 shown]
	v_and_or_b32 v7, v7, s27, v9
	v_sub_u32_e32 v7, v7, v8
	v_add_u32_e32 v8, 0x43000000, v7
; %bb.38:                               ;   in Loop: Header=BB12_30 Depth=1
	s_andn2_saveexec_b64 s[24:25], s[24:25]
	s_or_b64 exec, exec, s[24:25]
.LBB12_39:                              ;   in Loop: Header=BB12_30 Depth=1
	s_or_b64 exec, exec, s[22:23]
.LBB12_40:                              ;   in Loop: Header=BB12_30 Depth=1
	s_or_b64 exec, exec, s[20:21]
	v_add_co_u32_e32 v7, vcc, s0, v6
	v_bfe_u32 v9, v4, 7, 1
	v_addc_co_u32_e32 v10, vcc, 0, v3, vcc
	v_lshlrev_b32_e32 v11, 6, v9
	v_add_co_u32_e32 v14, vcc, v7, v11
	v_addc_co_u32_e32 v15, vcc, 0, v10, vcc
	v_lshlrev_b32_e32 v7, 5, v9
	v_sub_co_u32_e32 v10, vcc, v14, v7
	v_and_b32_e32 v6, 31, v4
	v_subbrev_co_u32_e32 v11, vcc, 0, v15, vcc
	v_add_co_u32_e32 v12, vcc, v10, v6
	v_addc_co_u32_e32 v13, vcc, 0, v11, vcc
	global_load_ubyte v7, v[12:13], off offset:128
	v_bfe_u32 v16, v4, 5, 2
	v_bfe_u32 v12, v4, 4, 1
	v_cmp_lt_i32_e32 vcc, 1, v16
                                        ; implicit-def: $vgpr13
	s_and_saveexec_b64 s[20:21], vcc
	s_xor_b64 s[20:21], exec, s[20:21]
	s_cbranch_execz .LBB12_46
; %bb.41:                               ;   in Loop: Header=BB12_30 Depth=1
	v_cmp_lt_i32_e32 vcc, 2, v16
                                        ; implicit-def: $vgpr13
	s_and_saveexec_b64 s[22:23], vcc
	s_xor_b64 s[22:23], exec, s[22:23]
	s_cbranch_execz .LBB12_43
; %bb.42:                               ;   in Loop: Header=BB12_30 Depth=1
	v_add_co_u32_e32 v14, vcc, v14, v6
	v_addc_co_u32_e32 v15, vcc, 0, v15, vcc
	global_load_ubyte v6, v[14:15], off offset:32
	s_waitcnt vmcnt(1)
	v_lshrrev_b32_e32 v7, 2, v7
	v_or_b32_e32 v12, 6, v12
                                        ; implicit-def: $vgpr14
                                        ; implicit-def: $vgpr15
	s_waitcnt vmcnt(0)
	v_lshrrev_b16_e32 v6, 4, v6
	v_and_or_b32 v13, v7, 48, v6
                                        ; implicit-def: $vgpr6_vgpr7
                                        ; implicit-def: $vgpr7
.LBB12_43:                              ;   in Loop: Header=BB12_30 Depth=1
	s_andn2_saveexec_b64 s[22:23], s[22:23]
	s_cbranch_execz .LBB12_45
; %bb.44:                               ;   in Loop: Header=BB12_30 Depth=1
	v_add_co_u32_e32 v14, vcc, v14, v6
	v_addc_co_u32_e32 v15, vcc, 0, v15, vcc
	global_load_ubyte v6, v[14:15], off
	v_or_b32_e32 v12, 4, v12
	s_waitcnt vmcnt(0)
	v_lshrrev_b16_e32 v6, 4, v6
	v_and_or_b32 v13, v7, 48, v6
.LBB12_45:                              ;   in Loop: Header=BB12_30 Depth=1
	s_or_b64 exec, exec, s[22:23]
                                        ; implicit-def: $vgpr6_vgpr7
                                        ; implicit-def: $vgpr14
                                        ; implicit-def: $vgpr15
                                        ; implicit-def: $vgpr16
                                        ; implicit-def: $vgpr7
.LBB12_46:                              ;   in Loop: Header=BB12_30 Depth=1
	s_andn2_saveexec_b64 s[20:21], s[20:21]
	s_cbranch_execz .LBB12_29
; %bb.47:                               ;   in Loop: Header=BB12_30 Depth=1
	v_cmp_ne_u32_e32 vcc, 1, v16
                                        ; implicit-def: $vgpr13
	s_and_saveexec_b64 s[22:23], vcc
	s_xor_b64 s[22:23], exec, s[22:23]
	s_cbranch_execz .LBB12_49
; %bb.48:                               ;   in Loop: Header=BB12_30 Depth=1
	v_add_co_u32_e32 v14, vcc, v14, v6
	v_addc_co_u32_e32 v15, vcc, 0, v15, vcc
	global_load_ubyte v6, v[14:15], off
	s_waitcnt vmcnt(1)
	v_lshlrev_b32_e32 v7, 4, v7
                                        ; implicit-def: $vgpr14
                                        ; implicit-def: $vgpr15
	s_waitcnt vmcnt(0)
	v_and_b32_e32 v6, 15, v6
	v_and_or_b32 v13, v7, 48, v6
                                        ; implicit-def: $vgpr6_vgpr7
                                        ; implicit-def: $vgpr7
.LBB12_49:                              ;   in Loop: Header=BB12_30 Depth=1
	s_andn2_saveexec_b64 s[22:23], s[22:23]
	s_cbranch_execz .LBB12_28
; %bb.50:                               ;   in Loop: Header=BB12_30 Depth=1
	v_add_co_u32_e32 v14, vcc, v14, v6
	v_addc_co_u32_e32 v15, vcc, 0, v15, vcc
	global_load_ubyte v6, v[14:15], off offset:32
	s_waitcnt vmcnt(1)
	v_lshlrev_b32_e32 v7, 2, v7
	v_or_b32_e32 v12, 2, v12
	s_waitcnt vmcnt(0)
	v_and_b32_e32 v6, 15, v6
	v_and_or_b32 v13, v7, 48, v6
	s_branch .LBB12_28
.LBB12_51:
	s_or_b64 exec, exec, s[18:19]
.LBB12_52:
	s_or_b64 exec, exec, s[16:17]
.LBB12_53:
	s_or_b64 exec, exec, s[14:15]
	v_mbcnt_lo_u32_b32 v3, -1, 0
	v_mbcnt_hi_u32_b32 v5, -1, v3
	v_and_b32_e32 v7, 63, v5
	v_cmp_gt_u32_e32 vcc, 48, v7
	v_cndmask_b32_e64 v3, 0, 1, vcc
	v_lshlrev_b32_e32 v3, 4, v3
	v_add_lshl_u32 v3, v3, v5, 2
	ds_bpermute_b32 v4, v3, v1
	v_cmp_gt_u32_e32 vcc, 56, v7
	v_cndmask_b32_e64 v6, 0, 1, vcc
	v_lshlrev_b32_e32 v6, 3, v6
	v_cmp_gt_u32_e32 vcc, 60, v7
	s_waitcnt lgkmcnt(0)
	v_add_f32_e32 v4, v1, v4
	v_add_lshl_u32 v1, v6, v5, 2
	ds_bpermute_b32 v6, v1, v4
	v_cndmask_b32_e64 v8, 0, 1, vcc
	v_lshlrev_b32_e32 v8, 2, v8
	v_cmp_gt_u32_e32 vcc, 62, v7
	v_cndmask_b32_e64 v9, 0, 1, vcc
	s_waitcnt lgkmcnt(0)
	v_add_f32_e32 v6, v4, v6
	v_add_lshl_u32 v4, v8, v5, 2
	ds_bpermute_b32 v8, v4, v6
	v_lshlrev_b32_e32 v9, 1, v9
	v_cmp_ne_u32_e32 vcc, 63, v7
	v_addc_co_u32_e32 v7, vcc, 0, v5, vcc
	s_waitcnt lgkmcnt(0)
	v_add_f32_e32 v8, v6, v8
	v_add_lshl_u32 v6, v9, v5, 2
	ds_bpermute_b32 v9, v6, v8
	v_lshlrev_b32_e32 v7, 2, v7
	v_cmp_eq_u32_e32 vcc, 0, v2
	s_waitcnt lgkmcnt(0)
	v_add_f32_e32 v5, v8, v9
	ds_bpermute_b32 v8, v7, v5
	s_and_saveexec_b64 s[0:1], vcc
	s_cbranch_execz .LBB12_55
; %bb.54:
	s_waitcnt lgkmcnt(0)
	v_add_f32_e32 v5, v5, v8
	v_lshrrev_b32_e32 v8, 3, v0
	ds_write_b32 v8, v5
.LBB12_55:
	s_or_b64 exec, exec, s[0:1]
	s_waitcnt lgkmcnt(0)
	s_barrier
	s_load_dword s0, s[4:5], 0x3c
	v_mov_b32_e32 v5, 0
	s_waitcnt lgkmcnt(0)
	s_and_b32 s0, s0, 0xffff
	s_add_i32 s0, s0, 31
	s_lshr_b32 s0, s0, 5
	v_cmp_gt_u32_e32 vcc, s0, v0
	s_and_saveexec_b64 s[0:1], vcc
	s_cbranch_execz .LBB12_57
; %bb.56:
	v_lshlrev_b32_e32 v2, 2, v2
	ds_read_b32 v5, v2
.LBB12_57:
	s_or_b64 exec, exec, s[0:1]
	v_cmp_gt_u32_e32 vcc, 32, v0
	s_and_saveexec_b64 s[0:1], vcc
	s_cbranch_execz .LBB12_59
; %bb.58:
	s_waitcnt lgkmcnt(0)
	ds_bpermute_b32 v2, v3, v5
	s_waitcnt lgkmcnt(0)
	v_add_f32_e32 v2, v5, v2
	ds_bpermute_b32 v1, v1, v2
	s_waitcnt lgkmcnt(0)
	v_add_f32_e32 v1, v2, v1
	ds_bpermute_b32 v2, v4, v1
	s_waitcnt lgkmcnt(0)
	v_add_f32_e32 v1, v1, v2
	ds_bpermute_b32 v2, v6, v1
	s_waitcnt lgkmcnt(0)
	v_add_f32_e32 v1, v1, v2
	ds_bpermute_b32 v2, v7, v1
	s_waitcnt lgkmcnt(0)
	v_add_f32_e32 v5, v1, v2
.LBB12_59:
	s_or_b64 exec, exec, s[0:1]
	s_mov_b32 s1, 0
	v_cmp_eq_u32_e32 vcc, 0, v0
	s_and_saveexec_b64 s[2:3], vcc
	s_cbranch_execz .LBB12_63
; %bb.60:
	s_lshr_b32 s0, s10, 2
	s_add_i32 s0, s0, s6
	s_lshl_b64 s[0:1], s[0:1], 2
	s_add_u32 s0, s8, s0
	s_addc_u32 s1, s9, s1
	s_cmp_eq_u32 s11, 0
	s_cbranch_scc1 .LBB12_62
; %bb.61:
	s_load_dword s2, s[0:1], 0x0
	s_waitcnt lgkmcnt(0)
	v_add_f32_e32 v5, s2, v5
.LBB12_62:
	v_mov_b32_e32 v0, 0
	s_waitcnt lgkmcnt(0)
	global_store_dword v0, v5, s[0:1]
.LBB12_63:
	s_endpgm
	.section	.rodata,"a",@progbits
	.p2align	6, 0x0
	.amdhsa_kernel dmmv_q6k
		.amdhsa_group_segment_fixed_size 128
		.amdhsa_private_segment_fixed_size 0
		.amdhsa_kernarg_size 304
		.amdhsa_user_sgpr_count 6
		.amdhsa_user_sgpr_private_segment_buffer 1
		.amdhsa_user_sgpr_dispatch_ptr 0
		.amdhsa_user_sgpr_queue_ptr 0
		.amdhsa_user_sgpr_kernarg_segment_ptr 1
		.amdhsa_user_sgpr_dispatch_id 0
		.amdhsa_user_sgpr_flat_scratch_init 0
		.amdhsa_user_sgpr_kernarg_preload_length 0
		.amdhsa_user_sgpr_kernarg_preload_offset 0
		.amdhsa_user_sgpr_private_segment_size 0
		.amdhsa_uses_dynamic_stack 0
		.amdhsa_system_sgpr_private_segment_wavefront_offset 0
		.amdhsa_system_sgpr_workgroup_id_x 1
		.amdhsa_system_sgpr_workgroup_id_y 0
		.amdhsa_system_sgpr_workgroup_id_z 0
		.amdhsa_system_sgpr_workgroup_info 0
		.amdhsa_system_vgpr_workitem_id 0
		.amdhsa_next_free_vgpr 17
		.amdhsa_next_free_sgpr 28
		.amdhsa_accum_offset 20
		.amdhsa_reserve_vcc 1
		.amdhsa_reserve_flat_scratch 0
		.amdhsa_float_round_mode_32 0
		.amdhsa_float_round_mode_16_64 0
		.amdhsa_float_denorm_mode_32 3
		.amdhsa_float_denorm_mode_16_64 3
		.amdhsa_dx10_clamp 1
		.amdhsa_ieee_mode 1
		.amdhsa_fp16_overflow 0
		.amdhsa_tg_split 0
		.amdhsa_exception_fp_ieee_invalid_op 0
		.amdhsa_exception_fp_denorm_src 0
		.amdhsa_exception_fp_ieee_div_zero 0
		.amdhsa_exception_fp_ieee_overflow 0
		.amdhsa_exception_fp_ieee_underflow 0
		.amdhsa_exception_fp_ieee_inexact 0
		.amdhsa_exception_int_div_zero 0
	.end_amdhsa_kernel
	.text
.Lfunc_end12:
	.size	dmmv_q6k, .Lfunc_end12-dmmv_q6k
                                        ; -- End function
	.section	.AMDGPU.csdata,"",@progbits
; Kernel info:
; codeLenInByte = 2080
; NumSgprs: 32
; NumVgprs: 17
; NumAgprs: 0
; TotalNumVgprs: 17
; ScratchSize: 0
; MemoryBound: 0
; FloatMode: 240
; IeeeMode: 1
; LDSByteSize: 128 bytes/workgroup (compile time only)
; SGPRBlocks: 3
; VGPRBlocks: 2
; NumSGPRsForWavesPerEU: 32
; NumVGPRsForWavesPerEU: 17
; AccumOffset: 20
; Occupancy: 8
; WaveLimiterHint : 0
; COMPUTE_PGM_RSRC2:SCRATCH_EN: 0
; COMPUTE_PGM_RSRC2:USER_SGPR: 6
; COMPUTE_PGM_RSRC2:TRAP_HANDLER: 0
; COMPUTE_PGM_RSRC2:TGID_X_EN: 1
; COMPUTE_PGM_RSRC2:TGID_Y_EN: 0
; COMPUTE_PGM_RSRC2:TGID_Z_EN: 0
; COMPUTE_PGM_RSRC2:TIDIG_COMP_CNT: 0
; COMPUTE_PGM_RSRC3_GFX90A:ACCUM_OFFSET: 4
; COMPUTE_PGM_RSRC3_GFX90A:TG_SPLIT: 0
	.text
	.protected	softmax_topk            ; -- Begin function softmax_topk
	.globl	softmax_topk
	.p2align	8
	.type	softmax_topk,@function
softmax_topk:                           ; @softmax_topk
; %bb.0:
	s_load_dwordx2 s[6:7], s[4:5], 0x10
	s_load_dwordx4 s[8:11], s[4:5], 0x0
	s_waitcnt lgkmcnt(0)
	v_cmp_gt_u32_e32 vcc, s6, v0
	s_and_saveexec_b64 s[4:5], vcc
	s_cbranch_execz .LBB13_15
; %bb.1:
	v_xad_u32 v1, v0, -1, s6
	s_movk_i32 s0, 0x5c0
	s_movk_i32 s2, 0x5bf
	v_cmp_gt_u32_e64 s[0:1], s0, v1
	v_cmp_lt_u32_e64 s[2:3], s2, v1
	v_mov_b32_e32 v2, v0
	s_and_saveexec_b64 s[12:13], s[2:3]
	s_cbranch_execz .LBB13_12
; %bb.2:
	v_subrev_u32_e32 v2, s6, v0
	v_or_b32_e32 v2, 63, v2
	v_cmp_ge_u32_e64 s[2:3], v2, v0
	s_mov_b64 s[16:17], -1
	v_mov_b32_e32 v2, v0
	s_and_saveexec_b64 s[14:15], s[2:3]
	s_cbranch_execz .LBB13_11
; %bb.3:
	v_lshrrev_b32_e32 v10, 6, v1
	v_add_u32_e32 v2, -3, v10
	v_add_u32_e32 v1, 64, v0
	v_lshrrev_b32_e32 v3, 2, v2
	v_add_u32_e32 v11, 1, v3
	v_cmp_lt_u32_e64 s[2:3], 11, v2
	v_mov_b32_e32 v4, 0
	v_pk_mov_b32 v[2:3], v[0:1], v[0:1] op_sel:[0,1]
	s_and_saveexec_b64 s[16:17], s[2:3]
	s_cbranch_execz .LBB13_7
; %bb.4:
	v_and_b32_e32 v12, 0x7ffffffc, v11
	v_lshlrev_b32_e32 v13, 2, v0
	s_mov_b32 s20, 0
	s_mov_b64 s[18:19], 0
	v_mov_b32_e32 v14, s9
	v_mov_b32_e32 v5, 0
	v_pk_mov_b32 v[2:3], v[0:1], v[0:1] op_sel:[0,1]
.LBB13_5:                               ; =>This Inner Loop Header: Depth=1
	v_mov_b32_e32 v4, v2
	v_lshlrev_b64 v[34:35], 2, v[4:5]
	v_add_u32_e32 v8, 0x80, v2
	v_mov_b32_e32 v9, v5
	v_add_co_u32_e64 v34, s[2:3], s8, v34
	v_lshlrev_b64 v[8:9], 2, v[8:9]
	v_addc_co_u32_e64 v35, s[2:3], v14, v35, s[2:3]
	v_add_u32_e32 v6, 0x80, v3
	v_mov_b32_e32 v7, v5
	v_add_co_u32_e64 v8, s[2:3], s8, v8
	v_lshlrev_b64 v[6:7], 2, v[6:7]
	v_addc_co_u32_e64 v9, s[2:3], v14, v9, s[2:3]
	;; [unrolled: 5-line block ×11, first 2 shown]
	v_mov_b32_e32 v4, v3
	v_add_co_u32_e64 v30, s[2:3], s8, v30
	v_lshlrev_b64 v[36:37], 2, v[4:5]
	v_addc_co_u32_e64 v31, s[2:3], v14, v31, s[2:3]
	v_add_u32_e32 v4, 0x100, v2
	v_add_co_u32_e64 v36, s[2:3], s8, v36
	v_addc_co_u32_e64 v37, s[2:3], v14, v37, s[2:3]
	global_load_dword v1, v[34:35], off
	v_lshlrev_b64 v[34:35], 2, v[4:5]
	v_add_u32_e32 v4, 0x200, v2
	v_add_co_u32_e64 v34, s[2:3], s8, v34
	v_addc_co_u32_e64 v35, s[2:3], v14, v35, s[2:3]
	v_lshlrev_b64 v[38:39], 2, v[4:5]
	v_add_u32_e32 v4, 0x300, v2
	global_load_dword v15, v[36:37], off
	global_load_dword v40, v[8:9], off
	;; [unrolled: 1-line block ×7, first 2 shown]
	v_add_co_u32_e64 v6, s[2:3], s8, v38
	v_addc_co_u32_e64 v7, s[2:3], v14, v39, s[2:3]
	v_lshlrev_b64 v[8:9], 2, v[4:5]
	v_add_co_u32_e64 v8, s[2:3], s8, v8
	v_addc_co_u32_e64 v9, s[2:3], v14, v9, s[2:3]
	global_load_dword v16, v[6:7], off
	global_load_dword v17, v[22:23], off
	;; [unrolled: 1-line block ×8, first 2 shown]
	v_add_u32_e32 v12, -4, v12
	s_add_i32 s20, s20, 16
	v_cmp_eq_u32_e64 s[2:3], 0, v12
	v_add_u32_e32 v3, 0x400, v3
	v_mov_b32_e32 v4, s20
	s_or_b64 s[18:19], s[2:3], s[18:19]
	v_add_u32_e32 v2, 0x400, v2
	s_waitcnt vmcnt(14)
	ds_write2st64_b32 v13, v1, v15 offset1:1
	s_waitcnt vmcnt(12)
	ds_write2st64_b32 v13, v40, v41 offset0:2 offset1:3
	s_waitcnt vmcnt(10)
	ds_write2st64_b32 v13, v42, v43 offset0:4 offset1:5
	;; [unrolled: 2-line block ×7, first 2 shown]
	v_add_u32_e32 v13, 0x1000, v13
	s_andn2_b64 exec, exec, s[18:19]
	s_cbranch_execnz .LBB13_5
; %bb.6:
	s_or_b64 exec, exec, s[18:19]
.LBB13_7:
	s_or_b64 exec, exec, s[16:17]
	v_and_b32_e32 v1, 3, v11
	v_cmp_ne_u32_e64 s[2:3], 0, v1
	s_and_saveexec_b64 s[16:17], s[2:3]
	s_cbranch_execz .LBB13_10
; %bb.8:
	v_lshlrev_b32_e32 v5, 2, v0
	v_lshl_add_u32 v6, v4, 8, v5
	s_mov_b64 s[18:19], 0
	v_mov_b32_e32 v7, s9
	v_mov_b32_e32 v5, 0
.LBB13_9:                               ; =>This Inner Loop Header: Depth=1
	v_mov_b32_e32 v4, v2
	v_lshlrev_b64 v[14:15], 2, v[4:5]
	v_add_u32_e32 v12, 0x80, v2
	v_mov_b32_e32 v13, v5
	v_add_co_u32_e64 v14, s[2:3], s8, v14
	v_lshlrev_b64 v[12:13], 2, v[12:13]
	v_addc_co_u32_e64 v15, s[2:3], v7, v15, s[2:3]
	v_add_u32_e32 v8, 0x80, v3
	v_mov_b32_e32 v9, v5
	v_add_co_u32_e64 v12, s[2:3], s8, v12
	v_lshlrev_b64 v[8:9], 2, v[8:9]
	v_addc_co_u32_e64 v13, s[2:3], v7, v13, s[2:3]
	v_mov_b32_e32 v4, v3
	v_add_co_u32_e64 v8, s[2:3], s8, v8
	v_lshlrev_b64 v[16:17], 2, v[4:5]
	v_addc_co_u32_e64 v9, s[2:3], v7, v9, s[2:3]
	v_add_co_u32_e64 v16, s[2:3], s8, v16
	v_addc_co_u32_e64 v17, s[2:3], v7, v17, s[2:3]
	global_load_dword v4, v[14:15], off
	global_load_dword v11, v[16:17], off
	;; [unrolled: 1-line block ×4, first 2 shown]
	v_add_u32_e32 v1, -1, v1
	v_cmp_eq_u32_e64 s[2:3], 0, v1
	v_add_u32_e32 v2, 0x100, v2
	v_add_u32_e32 v3, 0x100, v3
	s_or_b64 s[18:19], s[2:3], s[18:19]
	s_waitcnt vmcnt(2)
	ds_write2st64_b32 v6, v4, v11 offset1:1
	s_waitcnt vmcnt(0)
	ds_write2st64_b32 v6, v18, v19 offset0:2 offset1:3
	v_add_u32_e32 v6, 0x400, v6
	s_andn2_b64 exec, exec, s[18:19]
	s_cbranch_execnz .LBB13_9
.LBB13_10:
	s_or_b64 exec, exec, s[16:17]
	v_add_u32_e32 v1, 1, v10
	v_and_b32_e32 v3, 0x7fffffc, v1
	v_cmp_ne_u32_e64 s[2:3], v1, v3
	v_lshl_add_u32 v2, v3, 6, v0
	s_orn2_b64 s[16:17], s[2:3], exec
.LBB13_11:
	s_or_b64 exec, exec, s[14:15]
	s_andn2_b64 s[0:1], s[0:1], exec
	s_and_b64 s[2:3], s[16:17], exec
	s_or_b64 s[0:1], s[0:1], s[2:3]
.LBB13_12:
	s_or_b64 exec, exec, s[12:13]
	s_and_b64 exec, exec, s[0:1]
	s_cbranch_execz .LBB13_15
; %bb.13:
	v_lshlrev_b32_e32 v1, 2, v2
	s_mov_b64 s[2:3], 0
	v_mov_b32_e32 v3, 0
	v_mov_b32_e32 v4, s9
.LBB13_14:                              ; =>This Inner Loop Header: Depth=1
	v_lshlrev_b64 v[6:7], 2, v[2:3]
	v_add_co_u32_e64 v6, s[0:1], s8, v6
	v_addc_co_u32_e64 v7, s[0:1], v4, v7, s[0:1]
	global_load_dword v5, v[6:7], off
	v_add_u32_e32 v2, 64, v2
	v_cmp_le_u32_e64 s[0:1], s6, v2
	s_or_b64 s[2:3], s[0:1], s[2:3]
	s_waitcnt vmcnt(0)
	ds_write_b32 v1, v5
	v_add_u32_e32 v1, 0x100, v1
	s_andn2_b64 exec, exec, s[2:3]
	s_cbranch_execnz .LBB13_14
.LBB13_15:
	s_or_b64 exec, exec, s[4:5]
	s_cmp_lg_u32 s7, 0
	s_mov_b32 s9, 0
	s_cselect_b64 s[4:5], -1, 0
	s_cmp_eq_u32 s7, 0
	v_cmp_eq_u32_e64 s[0:1], 0, v0
	s_waitcnt lgkmcnt(0)
	s_barrier
	s_cbranch_scc1 .LBB13_24
; %bb.16:
	v_lshlrev_b32_e32 v1, 2, v0
	v_add_u32_e32 v2, 0x500, v1
	v_add_u32_e32 v3, 0x400, v1
	v_mov_b32_e32 v4, 0
	s_mov_b32 s16, 0xff800000
	v_mov_b32_e32 v5, 0xff800000
	s_mov_b32 s8, s9
	s_branch .LBB13_18
.LBB13_17:                              ;   in Loop: Header=BB13_18 Depth=1
	s_or_b64 exec, exec, s[12:13]
	s_add_i32 s8, s8, 1
	s_cmp_eq_u32 s8, s7
	s_waitcnt lgkmcnt(0)
	s_barrier
	s_cbranch_scc1 .LBB13_24
.LBB13_18:                              ; =>This Loop Header: Depth=1
                                        ;     Child Loop BB13_20 Depth 2
	v_mov_b32_e32 v6, 0
	v_mov_b32_e32 v7, 0xff800000
	s_and_saveexec_b64 s[12:13], vcc
	s_cbranch_execz .LBB13_22
; %bb.19:                               ;   in Loop: Header=BB13_18 Depth=1
	s_mov_b64 s[14:15], 0
	v_mov_b32_e32 v6, 0
	v_mov_b32_e32 v7, 0xff800000
	v_mov_b32_e32 v8, v1
	v_mov_b32_e32 v9, v0
.LBB13_20:                              ;   Parent Loop BB13_18 Depth=1
                                        ; =>  This Inner Loop Header: Depth=2
	ds_read_b32 v10, v8
	v_add_u32_e32 v8, 0x100, v8
	s_waitcnt lgkmcnt(0)
	v_cmp_gt_f32_e64 s[2:3], v10, v7
	v_cndmask_b32_e64 v6, v6, v9, s[2:3]
	v_add_u32_e32 v9, 64, v9
	v_cndmask_b32_e64 v7, v7, v10, s[2:3]
	v_cmp_le_u32_e64 s[2:3], s6, v9
	s_or_b64 s[14:15], s[2:3], s[14:15]
	s_andn2_b64 exec, exec, s[14:15]
	s_cbranch_execnz .LBB13_20
; %bb.21:                               ;   in Loop: Header=BB13_18 Depth=1
	s_or_b64 exec, exec, s[14:15]
.LBB13_22:                              ;   in Loop: Header=BB13_18 Depth=1
	s_or_b64 exec, exec, s[12:13]
	ds_write_b32 v2, v7
	ds_write_b32 v3, v6
	s_waitcnt lgkmcnt(0)
	s_barrier
	s_and_saveexec_b64 s[12:13], s[0:1]
	s_cbranch_execz .LBB13_17
; %bb.23:                               ;   in Loop: Header=BB13_18 Depth=1
	ds_read_b128 v[6:9], v4 offset:1280
	ds_read_b128 v[10:13], v4 offset:1024
	ds_read_b128 v[14:17], v4 offset:1040
	ds_read_b128 v[18:21], v4 offset:1056
	ds_read_b128 v[22:25], v4 offset:1072
	ds_read_b128 v[26:29], v4 offset:1296
	s_waitcnt lgkmcnt(5)
	v_cmp_nlg_f32_e64 s[2:3], s16, v6
	v_cndmask_b32_e64 v6, v6, v5, s[2:3]
	s_waitcnt lgkmcnt(4)
	v_cndmask_b32_e64 v10, v10, 0, s[2:3]
	v_cmp_gt_f32_e64 s[2:3], v7, v6
	v_cndmask_b32_e64 v6, v6, v7, s[2:3]
	v_cndmask_b32_e64 v7, v10, v11, s[2:3]
	v_cmp_gt_f32_e64 s[2:3], v8, v6
	v_cndmask_b32_e64 v6, v6, v8, s[2:3]
	;; [unrolled: 3-line block ×3, first 2 shown]
	v_cndmask_b32_e64 v7, v7, v13, s[2:3]
	s_waitcnt lgkmcnt(0)
	v_cmp_gt_f32_e64 s[2:3], v26, v6
	v_cndmask_b32_e64 v6, v6, v26, s[2:3]
	v_cndmask_b32_e64 v7, v7, v14, s[2:3]
	v_cmp_gt_f32_e64 s[2:3], v27, v6
	v_cndmask_b32_e64 v6, v6, v27, s[2:3]
	v_cndmask_b32_e64 v7, v7, v15, s[2:3]
	;; [unrolled: 3-line block ×3, first 2 shown]
	ds_read_b128 v[6:9], v4 offset:1312
	v_cmp_gt_f32_e64 s[2:3], v29, v10
	v_cndmask_b32_e64 v14, v10, v29, s[2:3]
	v_cndmask_b32_e64 v15, v11, v17, s[2:3]
	ds_read_b128 v[10:13], v4 offset:1328
	s_waitcnt lgkmcnt(1)
	v_cmp_gt_f32_e64 s[2:3], v6, v14
	v_cndmask_b32_e64 v6, v14, v6, s[2:3]
	v_cndmask_b32_e64 v14, v15, v18, s[2:3]
	v_cmp_gt_f32_e64 s[2:3], v7, v6
	v_cndmask_b32_e64 v6, v6, v7, s[2:3]
	v_cndmask_b32_e64 v7, v14, v19, s[2:3]
	;; [unrolled: 3-line block ×4, first 2 shown]
	s_waitcnt lgkmcnt(0)
	v_cmp_gt_f32_e64 s[2:3], v10, v6
	v_cndmask_b32_e64 v6, v6, v10, s[2:3]
	v_cndmask_b32_e64 v7, v7, v22, s[2:3]
	v_cmp_gt_f32_e64 s[2:3], v11, v6
	v_cndmask_b32_e64 v6, v6, v11, s[2:3]
	v_cndmask_b32_e64 v7, v7, v23, s[2:3]
	;; [unrolled: 3-line block ×3, first 2 shown]
	ds_read_b128 v[6:9], v4 offset:1344
	v_cmp_gt_f32_e64 s[2:3], v13, v10
	v_cndmask_b32_e64 v18, v10, v13, s[2:3]
	v_cndmask_b32_e64 v22, v11, v25, s[2:3]
	ds_read_b128 v[10:13], v4 offset:1088
	ds_read_b128 v[14:17], v4 offset:1360
	s_waitcnt lgkmcnt(2)
	v_cmp_gt_f32_e64 s[2:3], v6, v18
	v_cndmask_b32_e64 v6, v18, v6, s[2:3]
	ds_read_b128 v[18:21], v4 offset:1104
	s_waitcnt lgkmcnt(2)
	v_cndmask_b32_e64 v10, v22, v10, s[2:3]
	v_cmp_gt_f32_e64 s[2:3], v7, v6
	v_cndmask_b32_e64 v6, v6, v7, s[2:3]
	v_cndmask_b32_e64 v7, v10, v11, s[2:3]
	v_cmp_gt_f32_e64 s[2:3], v8, v6
	v_cndmask_b32_e64 v6, v6, v8, s[2:3]
	v_cndmask_b32_e64 v7, v7, v12, s[2:3]
	v_cmp_gt_f32_e64 s[2:3], v9, v6
	v_cndmask_b32_e64 v6, v6, v9, s[2:3]
	v_cndmask_b32_e64 v7, v7, v13, s[2:3]
	s_waitcnt lgkmcnt(1)
	v_cmp_gt_f32_e64 s[2:3], v14, v6
	v_cndmask_b32_e64 v6, v6, v14, s[2:3]
	s_waitcnt lgkmcnt(0)
	v_cndmask_b32_e64 v7, v7, v18, s[2:3]
	v_cmp_gt_f32_e64 s[2:3], v15, v6
	v_cndmask_b32_e64 v6, v6, v15, s[2:3]
	v_cndmask_b32_e64 v7, v7, v19, s[2:3]
	v_cmp_gt_f32_e64 s[2:3], v16, v6
	v_cndmask_b32_e64 v10, v6, v16, s[2:3]
	v_cndmask_b32_e64 v11, v7, v20, s[2:3]
	ds_read_b128 v[6:9], v4 offset:1376
	v_cmp_gt_f32_e64 s[2:3], v17, v10
	v_cndmask_b32_e64 v18, v10, v17, s[2:3]
	v_cndmask_b32_e64 v22, v11, v21, s[2:3]
	ds_read_b128 v[10:13], v4 offset:1120
	ds_read_b128 v[14:17], v4 offset:1392
	s_waitcnt lgkmcnt(2)
	v_cmp_gt_f32_e64 s[2:3], v6, v18
	v_cndmask_b32_e64 v6, v18, v6, s[2:3]
	ds_read_b128 v[18:21], v4 offset:1136
	s_waitcnt lgkmcnt(2)
	v_cndmask_b32_e64 v10, v22, v10, s[2:3]
	v_cmp_gt_f32_e64 s[2:3], v7, v6
	v_cndmask_b32_e64 v6, v6, v7, s[2:3]
	v_cndmask_b32_e64 v7, v10, v11, s[2:3]
	v_cmp_gt_f32_e64 s[2:3], v8, v6
	v_cndmask_b32_e64 v6, v6, v8, s[2:3]
	v_cndmask_b32_e64 v7, v7, v12, s[2:3]
	v_cmp_gt_f32_e64 s[2:3], v9, v6
	v_cndmask_b32_e64 v6, v6, v9, s[2:3]
	v_cndmask_b32_e64 v7, v7, v13, s[2:3]
	s_waitcnt lgkmcnt(1)
	v_cmp_gt_f32_e64 s[2:3], v14, v6
	v_cndmask_b32_e64 v6, v6, v14, s[2:3]
	s_waitcnt lgkmcnt(0)
	v_cndmask_b32_e64 v7, v7, v18, s[2:3]
	v_cmp_gt_f32_e64 s[2:3], v15, v6
	v_cndmask_b32_e64 v6, v6, v15, s[2:3]
	v_cndmask_b32_e64 v7, v7, v19, s[2:3]
	v_cmp_gt_f32_e64 s[2:3], v16, v6
	v_cndmask_b32_e64 v10, v6, v16, s[2:3]
	v_cndmask_b32_e64 v11, v7, v20, s[2:3]
	;; [unrolled: 32-line block ×6, first 2 shown]
	v_cmp_gt_f32_e64 s[2:3], v17, v6
	v_cndmask_b32_e64 v6, v6, v17, s[2:3]
	v_cndmask_b32_e64 v7, v7, v21, s[2:3]
	s_lshl_b64 s[2:3], s[8:9], 2
	s_add_u32 s2, s10, s2
	s_addc_u32 s3, s11, s3
	global_store_dword v4, v7, s[2:3]
	s_add_i32 s2, s8, s7
	s_mov_b32 s3, s9
	s_lshl_b64 s[2:3], s[2:3], 2
	s_add_u32 s2, s10, s2
	s_addc_u32 s3, s11, s3
	global_store_dword v4, v6, s[2:3]
	v_lshlrev_b32_e32 v6, 2, v7
	ds_write_b32 v6, v5
	s_branch .LBB13_17
.LBB13_24:
	v_cmp_eq_u32_e32 vcc, 0, v0
	s_and_saveexec_b64 s[0:1], vcc
	s_cbranch_execz .LBB13_42
; %bb.25:
	v_cndmask_b32_e64 v0, 0, 1, s[4:5]
	v_cmp_ne_u32_e64 s[0:1], 1, v0
	s_andn2_b64 vcc, exec, s[4:5]
	s_cbranch_vccnz .LBB13_32
; %bb.26:
	s_mov_b32 s3, 0
	v_mov_b32_e32 v0, 0xff800000
	v_mov_b32_e32 v1, 0
	s_mov_b32 s4, 0
.LBB13_27:                              ; =>This Inner Loop Header: Depth=1
	s_add_i32 s2, s7, s4
	s_lshl_b64 s[8:9], s[2:3], 2
	s_add_u32 s8, s10, s8
	s_addc_u32 s9, s11, s9
	global_load_dword v2, v1, s[8:9]
	v_max_f32_e32 v0, v0, v0
	s_add_i32 s4, s4, 1
	s_cmp_eq_u32 s7, s4
	s_waitcnt vmcnt(0)
	v_max_f32_e32 v2, v2, v2
	v_max_f32_e32 v0, v0, v2
	s_cbranch_scc0 .LBB13_27
; %bb.28:
	s_and_b64 vcc, exec, s[0:1]
	s_cbranch_vccnz .LBB13_33
.LBB13_29:
	s_mov_b32 s3, 0
	v_mov_b32_e32 v2, 0
	s_mov_b32 s4, 0x3fb8aa3b
	s_mov_b32 s5, 0xc2ce8ed0
	;; [unrolled: 1-line block ×3, first 2 shown]
	v_mov_b32_e32 v3, 0x7f800000
	s_mov_b32 s8, 0
	v_mov_b32_e32 v1, 0
.LBB13_30:                              ; =>This Inner Loop Header: Depth=1
	s_add_i32 s2, s7, s8
	s_lshl_b64 s[12:13], s[2:3], 2
	s_add_u32 s12, s10, s12
	s_addc_u32 s13, s11, s13
	global_load_dword v4, v2, s[12:13]
	s_add_i32 s8, s8, 1
	s_cmp_eq_u32 s7, s8
	s_waitcnt vmcnt(0)
	v_sub_f32_e32 v4, v4, v0
	v_mul_f32_e32 v5, 0x3fb8aa3b, v4
	v_fma_f32 v6, v4, s4, -v5
	v_rndne_f32_e32 v7, v5
	v_fmac_f32_e32 v6, 0x32a5705f, v4
	v_sub_f32_e32 v5, v5, v7
	v_add_f32_e32 v5, v5, v6
	v_cvt_i32_f32_e32 v7, v7
	v_exp_f32_e32 v5, v5
	v_cmp_ngt_f32_e32 vcc, s5, v4
	v_ldexp_f32 v5, v5, v7
	v_cndmask_b32_e32 v5, 0, v5, vcc
	v_cmp_nlt_f32_e32 vcc, s6, v4
	v_cndmask_b32_e32 v4, v3, v5, vcc
	v_add_f32_e32 v1, v1, v4
	global_store_dword v2, v4, s[12:13]
	s_cbranch_scc0 .LBB13_30
; %bb.31:
	s_and_b64 vcc, exec, s[0:1]
	s_cbranch_vccz .LBB13_34
	s_branch .LBB13_42
.LBB13_32:
	v_mov_b32_e32 v0, 0xff800000
	s_and_b64 vcc, exec, s[0:1]
	s_cbranch_vccz .LBB13_29
.LBB13_33:
	v_mov_b32_e32 v1, 0
	s_and_b64 vcc, exec, s[0:1]
	s_cbranch_vccnz .LBB13_42
.LBB13_34:
	v_div_scale_f32 v0, s[0:1], v1, v1, 1.0
	v_rcp_f32_e32 v2, v0
	s_cmp_lt_u32 s7, 4
	s_mov_b32 s2, 0
	s_cselect_b64 s[0:1], -1, 0
	v_fma_f32 v3, -v0, v2, 1.0
	v_fmac_f32_e32 v2, v3, v2
	v_div_scale_f32 v3, vcc, 1.0, v1, 1.0
	v_mul_f32_e32 v4, v3, v2
	v_fma_f32 v5, -v0, v4, v3
	v_fmac_f32_e32 v4, v5, v2
	v_fma_f32 v0, -v0, v4, v3
	v_div_fmas_f32 v0, v0, v2, v4
	v_div_fixup_f32 v0, v0, v1, 1.0
	v_cmp_lt_f32_e32 vcc, 0, v1
	s_cmp_gt_u32 s7, 3
	v_cndmask_b32_e32 v0, 0, v0, vcc
	s_cbranch_scc0 .LBB13_39
; %bb.35:
	s_lshl_b32 s0, s7, 1
	s_add_i32 s0, s0, -1
	s_cmp_ge_u32 s0, s7
	s_cbranch_scc0 .LBB13_43
; %bb.36:
	s_and_b32 s2, s7, -4
	v_mov_b32_e32 v1, v0
	s_mov_b32 s1, 0
	v_mov_b32_e32 v2, 0
	s_mov_b32 s3, 0
.LBB13_37:                              ; =>This Inner Loop Header: Depth=1
	s_add_i32 s0, s7, s3
	s_lshl_b64 s[4:5], s[0:1], 2
	s_add_u32 s4, s10, s4
	s_addc_u32 s5, s11, s5
	global_load_dwordx4 v[4:7], v2, s[4:5]
	s_add_i32 s3, s3, 4
	s_cmp_lg_u32 s2, s3
	s_waitcnt vmcnt(0)
	v_pk_mul_f32 v[4:5], v[0:1], v[4:5]
	v_pk_mul_f32 v[6:7], v[0:1], v[6:7]
	global_store_dwordx4 v2, v[4:7], s[4:5]
	s_cbranch_scc1 .LBB13_37
; %bb.38:
	s_cmp_lg_u32 s7, s2
	s_cselect_b64 s[0:1], -1, 0
.LBB13_39:
	s_and_b64 vcc, exec, s[0:1]
	s_cbranch_vccz .LBB13_42
.LBB13_40:
	s_mov_b32 s1, 0
	v_mov_b32_e32 v1, 0
.LBB13_41:                              ; =>This Inner Loop Header: Depth=1
	s_add_i32 s0, s7, s2
	s_lshl_b64 s[4:5], s[0:1], 2
	s_add_u32 s4, s10, s4
	s_addc_u32 s5, s11, s5
	global_load_dword v2, v1, s[4:5]
	s_add_i32 s2, s2, 1
	s_cmp_lg_u32 s7, s2
	s_waitcnt vmcnt(0)
	v_mul_f32_e32 v2, v0, v2
	global_store_dword v1, v2, s[4:5]
	s_cbranch_scc1 .LBB13_41
.LBB13_42:
	s_endpgm
.LBB13_43:
	s_cbranch_execnz .LBB13_40
	s_branch .LBB13_42
	.section	.rodata,"a",@progbits
	.p2align	6, 0x0
	.amdhsa_kernel softmax_topk
		.amdhsa_group_segment_fixed_size 1536
		.amdhsa_private_segment_fixed_size 0
		.amdhsa_kernarg_size 24
		.amdhsa_user_sgpr_count 6
		.amdhsa_user_sgpr_private_segment_buffer 1
		.amdhsa_user_sgpr_dispatch_ptr 0
		.amdhsa_user_sgpr_queue_ptr 0
		.amdhsa_user_sgpr_kernarg_segment_ptr 1
		.amdhsa_user_sgpr_dispatch_id 0
		.amdhsa_user_sgpr_flat_scratch_init 0
		.amdhsa_user_sgpr_kernarg_preload_length 0
		.amdhsa_user_sgpr_kernarg_preload_offset 0
		.amdhsa_user_sgpr_private_segment_size 0
		.amdhsa_uses_dynamic_stack 0
		.amdhsa_system_sgpr_private_segment_wavefront_offset 0
		.amdhsa_system_sgpr_workgroup_id_x 1
		.amdhsa_system_sgpr_workgroup_id_y 0
		.amdhsa_system_sgpr_workgroup_id_z 0
		.amdhsa_system_sgpr_workgroup_info 0
		.amdhsa_system_vgpr_workitem_id 0
		.amdhsa_next_free_vgpr 46
		.amdhsa_next_free_sgpr 21
		.amdhsa_accum_offset 48
		.amdhsa_reserve_vcc 1
		.amdhsa_reserve_flat_scratch 0
		.amdhsa_float_round_mode_32 0
		.amdhsa_float_round_mode_16_64 0
		.amdhsa_float_denorm_mode_32 3
		.amdhsa_float_denorm_mode_16_64 3
		.amdhsa_dx10_clamp 1
		.amdhsa_ieee_mode 1
		.amdhsa_fp16_overflow 0
		.amdhsa_tg_split 0
		.amdhsa_exception_fp_ieee_invalid_op 0
		.amdhsa_exception_fp_denorm_src 0
		.amdhsa_exception_fp_ieee_div_zero 0
		.amdhsa_exception_fp_ieee_overflow 0
		.amdhsa_exception_fp_ieee_underflow 0
		.amdhsa_exception_fp_ieee_inexact 0
		.amdhsa_exception_int_div_zero 0
	.end_amdhsa_kernel
	.text
.Lfunc_end13:
	.size	softmax_topk, .Lfunc_end13-softmax_topk
                                        ; -- End function
	.section	.AMDGPU.csdata,"",@progbits
; Kernel info:
; codeLenInByte = 4312
; NumSgprs: 25
; NumVgprs: 46
; NumAgprs: 0
; TotalNumVgprs: 46
; ScratchSize: 0
; MemoryBound: 0
; FloatMode: 240
; IeeeMode: 1
; LDSByteSize: 1536 bytes/workgroup (compile time only)
; SGPRBlocks: 3
; VGPRBlocks: 5
; NumSGPRsForWavesPerEU: 25
; NumVGPRsForWavesPerEU: 46
; AccumOffset: 48
; Occupancy: 8
; WaveLimiterHint : 0
; COMPUTE_PGM_RSRC2:SCRATCH_EN: 0
; COMPUTE_PGM_RSRC2:USER_SGPR: 6
; COMPUTE_PGM_RSRC2:TRAP_HANDLER: 0
; COMPUTE_PGM_RSRC2:TGID_X_EN: 1
; COMPUTE_PGM_RSRC2:TGID_Y_EN: 0
; COMPUTE_PGM_RSRC2:TGID_Z_EN: 0
; COMPUTE_PGM_RSRC2:TIDIG_COMP_CNT: 0
; COMPUTE_PGM_RSRC3_GFX90A:ACCUM_OFFSET: 11
; COMPUTE_PGM_RSRC3_GFX90A:TG_SPLIT: 0
	.text
	.protected	rope                    ; -- Begin function rope
	.globl	rope
	.p2align	8
	.type	rope,@function
rope:                                   ; @rope
; %bb.0:
	s_load_dwordx2 s[12:13], s[4:5], 0x18
	s_load_dwordx4 s[8:11], s[4:5], 0x0
	s_add_u32 s0, s4, 24
	s_addc_u32 s1, s5, 0
	s_waitcnt lgkmcnt(0)
	s_lshr_b32 s29, s13, 1
	s_mul_i32 s28, s12, s6
	v_cmp_gt_u32_e32 vcc, s29, v0
	s_and_saveexec_b64 s[14:15], vcc
	s_cbranch_execz .LBB14_15
; %bb.1:
	s_load_dword s6, s[4:5], 0x24
	s_load_dword s7, s[4:5], 0x3c
	s_load_dwordx2 s[16:17], s[0:1], 0x10
	s_load_dwordx2 s[2:3], s[4:5], 0x10
	v_cvt_f32_u32_e32 v10, s13
	s_waitcnt lgkmcnt(0)
	v_cvt_f32_u32_e32 v11, s6
	v_lshlrev_b32_e32 v2, 2, v0
	s_cmp_lg_u32 s17, 0
	v_mov_b32_e32 v1, s17
	s_cselect_b64 vcc, -1, 0
	s_cmp_lg_u32 s16, 0
	v_cndmask_b32_e32 v1, 1.0, v1, vcc
	s_cselect_b64 s[18:19], -1, 0
	s_and_b32 s17, s7, 0xffff
	v_mov_b32_e32 v3, s3
	v_add_co_u32_e32 v2, vcc, s2, v2
	s_mov_b32 s30, 0
	v_cmp_eq_f32_e64 s[20:21], s16, 1.0
	v_addc_co_u32_e32 v3, vcc, 0, v3, vcc
	s_lshl_b32 s31, s17, 2
	s_add_i32 s33, s29, s28
	v_lshlrev_b32_e32 v12, 1, v0
	s_lshl_b32 s34, s17, 1
	s_mov_b64 s[22:23], 0
	v_mov_b32_e32 v13, s9
	s_mov_b32 s35, 0x3f2aaaab
	v_mov_b32_e32 v14, 0x3ecccdef
	s_mov_b32 s36, 0x3f317218
	s_movk_i32 s37, 0x204
	s_mov_b32 s38, 0x7f800000
	s_mov_b32 s39, 0x42b17218
	;; [unrolled: 1-line block ×4, first 2 shown]
	s_brev_b32 s42, -2
	s_brev_b32 s43, 18
	s_mov_b32 s44, 0xfe5163ab
	s_mov_b32 s45, 0x3c439041
	;; [unrolled: 1-line block ×10, first 2 shown]
	v_mov_b32_e32 v15, 0xbe2aaa9d
	v_mov_b32_e32 v16, 0x3d2aabf7
	;; [unrolled: 1-line block ×3, first 2 shown]
	s_movk_i32 s54, 0x1f8
	v_mov_b32_e32 v5, 0
	v_mov_b32_e32 v18, 0x37000000
	;; [unrolled: 1-line block ×4, first 2 shown]
	v_not_b32_e32 v21, 63
	v_not_b32_e32 v22, 31
	v_mov_b32_e32 v23, v0
	s_branch .LBB14_3
.LBB14_2:                               ;   in Loop: Header=BB14_3 Depth=1
	s_or_b64 exec, exec, s[0:1]
	v_mul_f32_e32 v30, v29, v29
	v_mov_b32_e32 v31, 0x3c0881c4
	v_fmac_f32_e32 v31, 0xb94c1982, v30
	v_fma_f32 v31, v30, v31, v15
	v_mul_f32_e32 v31, v30, v31
	v_fmac_f32_e32 v29, v29, v31
	v_mov_b32_e32 v31, 0xbab64f3b
	v_fmac_f32_e32 v31, 0x37d75334, v30
	v_fma_f32 v31, v30, v31, v16
	v_fma_f32 v31, v30, v31, v17
	v_fma_f32 v30, v30, v31, 1.0
	v_and_b32_e32 v31, 1, v28
	v_cmp_eq_u32_e32 vcc, 0, v31
	v_lshlrev_b32_e32 v28, 30, v28
	v_cndmask_b32_e64 v29, -v29, v30, vcc
	v_and_b32_e32 v28, 0x80000000, v28
	v_xor_b32_e32 v28, v28, v29
	v_mul_f32_e32 v29, v32, v32
	v_mov_b32_e32 v30, 0x3c0881c4
	v_fmac_f32_e32 v30, 0xb94c1982, v29
	v_fma_f32 v30, v29, v30, v15
	v_mul_f32_e32 v30, v29, v30
	v_fmac_f32_e32 v32, v32, v30
	v_mov_b32_e32 v30, 0xbab64f3b
	v_fmac_f32_e32 v30, 0x37d75334, v29
	v_fma_f32 v30, v29, v30, v16
	v_fma_f32 v30, v29, v30, v17
	v_fma_f32 v29, v29, v30, 1.0
	v_and_b32_e32 v30, 1, v4
	v_lshlrev_b32_e32 v4, 30, v4
	v_cmp_class_f32_e64 vcc, v26, s54
	v_cmp_eq_u32_e64 s[0:1], 0, v30
	v_and_b32_e32 v4, 0x80000000, v4
	v_xor_b32_e32 v26, v27, v26
	v_cndmask_b32_e64 v29, v29, v32, s[0:1]
	v_xor_b32_e32 v4, v26, v4
	v_xor_b32_e32 v4, v4, v29
	v_cndmask_b32_e32 v4, v20, v4, vcc
	v_cndmask_b32_e32 v28, v20, v28, vcc
	v_mul_f32_e32 v4, v1, v4
	v_mul_f32_e32 v28, v1, v28
	;; [unrolled: 1-line block ×3, first 2 shown]
	v_mov_b32_e32 v27, s11
	v_add_co_u32_e32 v6, vcc, s10, v6
	v_fma_f32 v26, v24, v28, -v26
	v_addc_co_u32_e32 v7, vcc, v27, v7, vcc
	global_store_dword v[6:7], v26, off
	v_mul_f32_e32 v4, v24, v4
	v_add_co_u32_e32 v6, vcc, s10, v8
	v_fmac_f32_e32 v4, v25, v28
	v_addc_co_u32_e32 v7, vcc, v27, v9, vcc
	global_store_dword v[6:7], v4, off
	v_mov_b32_e32 v4, s30
	v_add_co_u32_e32 v2, vcc, s31, v2
	v_add_u32_e32 v23, s17, v23
	v_addc_co_u32_e32 v3, vcc, v3, v4, vcc
	v_cmp_le_u32_e32 vcc, s29, v23
	s_or_b64 s[22:23], vcc, s[22:23]
	v_add_u32_e32 v12, s34, v12
	s_andn2_b64 exec, exec, s[22:23]
	s_cbranch_execz .LBB14_15
.LBB14_3:                               ; =>This Inner Loop Header: Depth=1
	v_add_u32_e32 v4, s28, v23
	v_lshlrev_b64 v[6:7], 2, v[4:5]
	v_add_co_u32_e32 v26, vcc, s8, v6
	v_add_u32_e32 v4, s33, v23
	v_addc_co_u32_e32 v27, vcc, v13, v7, vcc
	v_lshlrev_b64 v[8:9], 2, v[4:5]
	v_add_co_u32_e32 v28, vcc, s8, v8
	v_addc_co_u32_e32 v29, vcc, v13, v9, vcc
	global_load_dword v24, v[26:27], off
	global_load_dword v25, v[28:29], off
	s_and_b64 vcc, exec, s[18:19]
	s_cbranch_vccz .LBB14_14
; %bb.4:                                ;   in Loop: Header=BB14_3 Depth=1
	v_cvt_f32_u32_e32 v4, v12
	v_mov_b32_e32 v42, s16
	v_div_scale_f32 v26, s[0:1], v10, v10, v4
	v_rcp_f32_e32 v27, v26
	v_div_scale_f32 v28, vcc, v4, v10, v4
	v_fma_f32 v29, -v26, v27, 1.0
	v_fmac_f32_e32 v27, v29, v27
	v_mul_f32_e32 v29, v28, v27
	v_fma_f32 v30, -v26, v29, v28
	v_fmac_f32_e32 v29, v30, v27
	v_fma_f32 v26, -v26, v29, v28
	v_div_fmas_f32 v26, v26, v27, v29
	v_div_fixup_f32 v43, v26, v10, v4
	v_cndmask_b32_e64 v44, v43, 1.0, s[20:21]
	v_cmp_eq_f32_e32 vcc, 0, v44
	v_cndmask_b32_e64 v45, |v42|, 1.0, vcc
	v_frexp_mant_f32_e32 v4, v45
	v_cmp_gt_f32_e64 s[0:1], s35, v4
	v_cndmask_b32_e64 v26, 1.0, 2.0, s[0:1]
	v_mul_f32_e32 v4, v4, v26
	v_add_f32_e32 v26, 1.0, v4
	v_rcp_f32_e32 v34, v26
	v_add_f32_e32 v27, -1.0, v26
	v_sub_f32_e32 v29, v4, v27
	v_add_f32_e32 v27, -1.0, v4
	v_mul_f32_e32 v4, v27, v34
	v_mul_f32_e32 v28, v26, v4
	v_fma_f32 v30, v4, v26, -v28
	v_fmac_f32_e32 v30, v4, v29
	v_add_f32_e32 v26, v28, v30
	v_sub_f32_e32 v29, v27, v26
	v_pk_add_f32 v[32:33], v[26:27], v[28:29] neg_lo:[0,1] neg_hi:[0,1]
	v_mov_b32_e32 v31, v26
	v_pk_add_f32 v[26:27], v[32:33], v[30:31] neg_lo:[0,1] neg_hi:[0,1]
	v_add_f32_e32 v26, v26, v27
	v_add_f32_e32 v26, v29, v26
	v_mul_f32_e32 v27, v34, v26
	v_add_f32_e32 v26, v4, v27
	v_sub_f32_e32 v4, v26, v4
	v_sub_f32_e32 v36, v27, v4
	v_mul_f32_e32 v4, v26, v26
	v_fma_f32 v27, v26, v26, -v4
	v_add_f32_e32 v28, v36, v36
	v_fmac_f32_e32 v27, v26, v28
	v_add_f32_e32 v28, v4, v27
	v_mov_b32_e32 v29, 0x3e91f4c4
	v_fmac_f32_e32 v29, 0x3e76c4e1, v28
	v_fma_f32 v29, v28, v29, v14
	v_sub_f32_e32 v4, v28, v4
	v_sub_f32_e32 v4, v27, v4
	v_mul_f32_e32 v27, v28, v29
	v_fma_f32 v30, v28, v29, -v27
	v_fmac_f32_e32 v30, v4, v29
	v_add_f32_e32 v29, v27, v30
	v_add_f32_e32 v31, 0x3f2aaaaa, v29
	v_sub_f32_e32 v27, v29, v27
	v_sub_f32_e32 v27, v30, v27
	v_add_f32_e32 v30, 0xbf2aaaaa, v31
	v_add_f32_e32 v27, 0x31739010, v27
	v_sub_f32_e32 v29, v29, v30
	v_pk_mul_f32 v[32:33], v[26:27], v[28:29]
	v_fma_f32 v30, v28, v26, -v32
	v_pk_add_f32 v[34:35], v[26:27], v[28:29]
	v_fmac_f32_e32 v30, v28, v36
	v_mov_b32_e32 v33, v35
	v_fmac_f32_e32 v30, v4, v26
	v_pk_add_f32 v[28:29], v[32:33], v[30:31]
	v_sub_f32_e32 v4, v28, v32
	v_sub_f32_e32 v27, v30, v4
	;; [unrolled: 1-line block ×3, first 2 shown]
	v_add_f32_e32 v34, v35, v4
	v_mov_b32_e32 v4, v29
	v_cvt_f64_f32_e32 v[32:33], v45
	v_pk_mul_f32 v[30:31], v[28:29], v[4:5]
	v_frexp_exp_i32_f64_e32 v4, v[32:33]
	v_subbrev_co_u32_e64 v4, s[0:1], 0, v4, s[0:1]
	v_cvt_f32_i32_e32 v4, v4
	v_fma_f32 v32, v28, v29, -v30
	v_fmac_f32_e32 v32, v28, v34
	v_fmac_f32_e32 v32, v27, v29
	v_mul_f32_e32 v28, 0x3f317218, v4
	v_fma_f32 v34, v4, s36, -v28
	v_fmac_f32_e32 v34, 0xb102e308, v4
	v_ldexp_f32 v35, v26, 1
	v_add_f32_e32 v29, v30, v32
	v_pk_add_f32 v[26:27], v[28:29], v[34:35]
	v_ldexp_f32 v4, v36, 1
	v_mov_b32_e32 v36, v29
	v_mov_b32_e32 v37, v27
	;; [unrolled: 1-line block ×3, first 2 shown]
	v_pk_add_f32 v[30:31], v[36:37], v[30:31] neg_lo:[0,1] neg_hi:[0,1]
	v_mov_b32_e32 v33, v29
	v_pk_add_f32 v[30:31], v[32:33], v[30:31] neg_lo:[0,1] neg_hi:[0,1]
	v_add_f32_e32 v4, v4, v30
	v_add_f32_e32 v29, v4, v31
	v_pk_add_f32 v[30:31], v[26:27], v[28:29] neg_lo:[0,1] neg_hi:[0,1]
	v_pk_add_f32 v[32:33], v[26:27], v[28:29]
	v_mov_b32_e32 v36, v30
	v_mov_b32_e32 v37, v33
	;; [unrolled: 1-line block ×3, first 2 shown]
	v_pk_add_f32 v[36:37], v[34:35], v[36:37]
	v_mov_b32_e32 v4, v37
	v_pk_add_f32 v[38:39], v[4:5], v[26:27] neg_lo:[0,1] neg_hi:[0,1]
	v_mov_b32_e32 v39, v38
	v_mov_b32_e32 v36, v33
	;; [unrolled: 1-line block ×4, first 2 shown]
	v_pk_add_f32 v[30:31], v[34:35], v[30:31] neg_lo:[0,1] neg_hi:[0,1]
	v_pk_add_f32 v[40:41], v[32:33], v[38:39] neg_lo:[0,1] neg_hi:[0,1]
	;; [unrolled: 1-line block ×3, first 2 shown]
	v_mov_b32_e32 v34, v29
	v_pk_add_f32 v[26:27], v[34:35], v[26:27] neg_lo:[0,1] neg_hi:[0,1]
	v_mov_b32_e32 v40, v30
	v_pk_add_f32 v[28:29], v[40:41], v[26:27]
	v_mov_b32_e32 v32, v29
	v_pk_add_f32 v[32:33], v[28:29], v[32:33]
	v_pk_add_f32 v[34:35], v[4:5], v[32:33]
	v_mov_b32_e32 v31, v37
	v_mov_b32_e32 v29, v34
	v_pk_add_f32 v[36:37], v[28:29], v[30:31] neg_lo:[0,1] neg_hi:[0,1]
	v_mov_b32_e32 v27, v32
	v_sub_f32_e32 v4, v28, v36
	v_pk_add_f32 v[26:27], v[26:27], v[36:37] neg_lo:[0,1] neg_hi:[0,1]
	v_sub_f32_e32 v4, v30, v4
	v_add_f32_e32 v4, v26, v4
	v_add_f32_e32 v4, v4, v27
	;; [unrolled: 1-line block ×3, first 2 shown]
	v_sub_f32_e32 v27, v26, v34
	v_sub_f32_e32 v4, v4, v27
	v_mul_f32_e32 v27, v44, v26
	v_fma_f32 v26, v44, v26, -v27
	v_fmac_f32_e32 v26, v44, v4
	v_add_f32_e32 v4, v27, v26
	v_cmp_class_f32_e64 s[0:1], v27, s37
	v_sub_f32_e32 v28, v4, v27
	v_cndmask_b32_e64 v4, v4, v27, s[0:1]
	v_cmp_eq_f32_e64 s[0:1], s39, v4
	v_cndmask_b32_e64 v27, 0, v18, s[0:1]
	v_sub_f32_e32 v26, v26, v28
	v_sub_f32_e32 v28, v4, v27
	v_mul_f32_e32 v29, 0x3fb8aa3b, v28
	v_fma_f32 v30, v28, s40, -v29
	v_rndne_f32_e32 v31, v29
	v_fmac_f32_e32 v30, 0x32a5705f, v28
	v_sub_f32_e32 v29, v29, v31
	v_add_f32_e32 v29, v29, v30
	v_exp_f32_e32 v29, v29
	v_cvt_i32_f32_e32 v30, v31
	v_cmp_neq_f32_e64 s[0:1], |v4|, s38
	v_cndmask_b32_e64 v4, 0, v26, s[0:1]
	v_cmp_ngt_f32_e64 s[0:1], s41, v28
	v_ldexp_f32 v26, v29, v30
	v_cndmask_b32_e64 v26, 0, v26, s[0:1]
	v_cmp_nlt_f32_e64 s[0:1], s39, v28
	v_add_f32_e32 v4, v27, v4
	v_cndmask_b32_e64 v26, v19, v26, s[0:1]
	v_fma_f32 v4, v26, v4, v26
	v_cmp_class_f32_e64 s[0:1], v26, s37
	v_trunc_f32_e32 v27, v44
	v_cndmask_b32_e64 v4, v4, v26, s[0:1]
	v_cndmask_b32_e64 v26, v42, 1.0, vcc
	v_cmp_eq_f32_e32 vcc, v27, v44
	v_mul_f32_e32 v27, 0.5, v44
	v_trunc_f32_e32 v28, v27
	v_cmp_neq_f32_e64 s[0:1], v28, v27
	s_and_b64 s[0:1], vcc, s[0:1]
	v_cndmask_b32_e64 v27, 1.0, v26, s[0:1]
	v_bfi_b32 v4, s42, v4, v27
	v_cndmask_b32_e32 v27, v20, v4, vcc
	v_cmp_gt_f32_e32 vcc, 0, v26
	v_cndmask_b32_e32 v4, v4, v27, vcc
	v_cndmask_b32_e64 v27, |v43|, 1.0, s[20:21]
	v_cmp_neq_f32_e32 vcc, v44, v27
	v_cmp_gt_f32_e64 s[2:3], 1.0, v45
	s_xor_b64 s[2:3], vcc, s[2:3]
	v_cndmask_b32_e64 v28, v27, 0, s[2:3]
	v_cmp_eq_f32_e32 vcc, 1.0, v45
	v_cndmask_b32_e32 v28, v28, v45, vcc
	v_cmp_eq_f32_e32 vcc, s38, v27
	v_cmp_eq_f32_e64 s[2:3], 0, v26
	v_cndmask_b32_e32 v4, v4, v28, vcc
	v_cmp_eq_f32_e32 vcc, s38, v45
	v_cndmask_b32_e64 v27, v19, 0, s[2:3]
	v_cndmask_b32_e64 v28, 0, v26, s[0:1]
	v_bfi_b32 v27, s42, v27, v28
	s_or_b64 vcc, vcc, s[2:3]
	v_cndmask_b32_e32 v4, v4, v27, vcc
	v_div_scale_f32 v27, s[0:1], v4, v4, 1.0
	v_rcp_f32_e32 v28, v27
	v_fma_f32 v29, -v27, v28, 1.0
	v_fmac_f32_e32 v28, v29, v28
	v_div_scale_f32 v29, vcc, 1.0, v4, 1.0
	v_mul_f32_e32 v30, v29, v28
	v_fma_f32 v31, -v27, v30, v29
	v_fmac_f32_e32 v30, v31, v28
	v_fma_f32 v27, -v27, v30, v29
	v_div_fmas_f32 v27, v27, v28, v30
	v_div_fixup_f32 v4, v27, v4, 1.0
	v_cmp_o_f32_e32 vcc, v26, v44
	v_cndmask_b32_e32 v4, v20, v4, vcc
	s_cbranch_execnz .LBB14_6
.LBB14_5:                               ;   in Loop: Header=BB14_3 Depth=1
	global_load_dword v4, v[2:3], off
.LBB14_6:                               ;   in Loop: Header=BB14_3 Depth=1
	s_waitcnt vmcnt(0)
	v_mul_f32_e32 v26, v4, v11
	v_and_b32_e32 v27, 0x7fffffff, v26
	v_lshrrev_b32_e32 v4, 23, v27
	v_and_b32_e32 v28, 0x7fffff, v27
	v_cmp_nlt_f32_e64 s[24:25], |v26|, s43
	v_add_u32_e32 v31, 0xffffff88, v4
	v_or_b32_e32 v30, 0x800000, v28
                                        ; implicit-def: $vgpr28
                                        ; implicit-def: $vgpr29
	s_and_saveexec_b64 s[0:1], s[24:25]
	s_xor_b64 s[26:27], exec, s[0:1]
	s_cbranch_execz .LBB14_8
; %bb.7:                                ;   in Loop: Header=BB14_3 Depth=1
	v_cmp_lt_u32_e32 vcc, 63, v31
	v_cndmask_b32_e32 v4, 0, v21, vcc
	v_add_u32_e32 v4, v4, v31
	v_cmp_lt_u32_e64 s[0:1], 31, v4
	v_cndmask_b32_e64 v28, 0, v22, s[0:1]
	v_add_u32_e32 v4, v28, v4
	v_cmp_lt_u32_e64 s[2:3], 31, v4
	v_cndmask_b32_e64 v28, 0, v22, s[2:3]
	v_add_u32_e32 v44, v28, v4
	v_mad_u64_u32 v[28:29], s[6:7], v30, s44, 0
	v_mov_b32_e32 v4, v29
	v_mad_u64_u32 v[32:33], s[6:7], v30, s45, v[4:5]
	v_mov_b32_e32 v4, v33
	v_mad_u64_u32 v[34:35], s[6:7], v30, s46, v[4:5]
	v_mov_b32_e32 v4, v35
	v_mad_u64_u32 v[36:37], s[6:7], v30, s47, v[4:5]
	v_mov_b32_e32 v4, v37
	v_mad_u64_u32 v[38:39], s[6:7], v30, s48, v[4:5]
	v_mov_b32_e32 v4, v39
	v_mad_u64_u32 v[40:41], s[6:7], v30, s49, v[4:5]
	v_mov_b32_e32 v4, v41
	v_mad_u64_u32 v[42:43], s[6:7], v30, s50, v[4:5]
	v_cndmask_b32_e32 v29, v40, v36, vcc
	v_cndmask_b32_e32 v4, v42, v38, vcc
	;; [unrolled: 1-line block ×3, first 2 shown]
	v_cndmask_b32_e64 v33, v4, v29, s[0:1]
	v_cndmask_b32_e64 v4, v35, v4, s[0:1]
	v_cndmask_b32_e32 v35, v38, v34, vcc
	v_cndmask_b32_e64 v29, v29, v35, s[0:1]
	v_cndmask_b32_e32 v32, v36, v32, vcc
	v_cndmask_b32_e64 v4, v4, v33, s[2:3]
	v_cndmask_b32_e64 v33, v33, v29, s[2:3]
	v_sub_u32_e32 v37, 32, v44
	v_cndmask_b32_e64 v35, v35, v32, s[0:1]
	v_alignbit_b32 v38, v4, v33, v37
	v_cmp_eq_u32_e64 s[6:7], 0, v44
	v_cndmask_b32_e64 v29, v29, v35, s[2:3]
	v_cndmask_b32_e32 v28, v34, v28, vcc
	v_cndmask_b32_e64 v4, v38, v4, s[6:7]
	v_alignbit_b32 v36, v33, v29, v37
	v_cndmask_b32_e64 v28, v32, v28, s[0:1]
	v_cndmask_b32_e64 v33, v36, v33, s[6:7]
	v_bfe_u32 v39, v4, 29, 1
	v_cndmask_b32_e64 v28, v35, v28, s[2:3]
	v_alignbit_b32 v36, v4, v33, 30
	v_sub_u32_e32 v40, 0, v39
	v_alignbit_b32 v32, v29, v28, v37
	v_xor_b32_e32 v41, v36, v40
	v_cndmask_b32_e64 v29, v32, v29, s[6:7]
	v_alignbit_b32 v32, v33, v29, 30
	v_ffbh_u32_e32 v33, v41
	v_add_u32_e32 v33, 1, v33
	v_cmp_ne_u32_e32 vcc, v36, v40
	v_cndmask_b32_e32 v33, 33, v33, vcc
	v_alignbit_b32 v28, v29, v28, 30
	v_xor_b32_e32 v32, v32, v40
	v_sub_u32_e32 v34, 32, v33
	v_xor_b32_e32 v28, v28, v40
	v_alignbit_b32 v35, v41, v32, v34
	v_alignbit_b32 v28, v32, v28, v34
	;; [unrolled: 1-line block ×3, first 2 shown]
	v_ffbh_u32_e32 v32, v29
	v_min_u32_e32 v32, 32, v32
	v_lshrrev_b32_e32 v38, 29, v4
	v_sub_u32_e32 v34, 31, v32
	v_alignbit_b32 v28, v29, v28, v34
	v_lshlrev_b32_e32 v29, 31, v38
	v_or_b32_e32 v34, 0x33800000, v29
	v_add_lshl_u32 v32, v32, v33, 23
	v_lshrrev_b32_e32 v28, 9, v28
	v_sub_u32_e32 v32, v34, v32
	v_or_b32_e32 v28, v32, v28
	v_alignbit_b32 v32, v33, v35, 9
	v_or_b32_e32 v29, v32, v29
	v_xor_b32_e32 v29, 1.0, v29
	v_mul_f32_e32 v32, 0x3fc90fda, v29
	v_fma_f32 v33, v29, s51, -v32
	v_fmac_f32_e32 v33, 0x33a22168, v29
	v_fmac_f32_e32 v33, 0x3fc90fda, v28
	v_lshrrev_b32_e32 v4, 30, v4
	v_add_f32_e32 v29, v32, v33
	v_add_u32_e32 v28, v39, v4
.LBB14_8:                               ;   in Loop: Header=BB14_3 Depth=1
	s_or_saveexec_b64 s[0:1], s[26:27]
	v_mul_f32_e64 v4, |v26|, s52
	v_rndne_f32_e32 v33, v4
	s_xor_b64 exec, exec, s[0:1]
; %bb.9:                                ;   in Loop: Header=BB14_3 Depth=1
	v_cvt_i32_f32_e32 v28, v33
	v_fma_f32 v29, v33, s53, |v26|
	v_fmac_f32_e32 v29, 0xb3a22168, v33
	v_fmac_f32_e32 v29, 0xa7c234c4, v33
; %bb.10:                               ;   in Loop: Header=BB14_3 Depth=1
	s_or_b64 exec, exec, s[0:1]
                                        ; implicit-def: $vgpr4
                                        ; implicit-def: $vgpr32
	s_and_saveexec_b64 s[0:1], s[24:25]
	s_xor_b64 s[24:25], exec, s[0:1]
	s_cbranch_execz .LBB14_12
; %bb.11:                               ;   in Loop: Header=BB14_3 Depth=1
	v_cmp_lt_u32_e32 vcc, 63, v31
	v_cndmask_b32_e32 v4, 0, v21, vcc
	v_add_u32_e32 v4, v4, v31
	v_cmp_lt_u32_e64 s[0:1], 31, v4
	v_cndmask_b32_e64 v31, 0, v22, s[0:1]
	v_add_u32_e32 v4, v31, v4
	v_cmp_lt_u32_e64 s[2:3], 31, v4
	v_cndmask_b32_e64 v31, 0, v22, s[2:3]
	v_mad_u64_u32 v[32:33], s[6:7], v30, s44, 0
	v_add_u32_e32 v44, v31, v4
	v_mov_b32_e32 v4, v33
	v_mad_u64_u32 v[34:35], s[6:7], v30, s45, v[4:5]
	v_mov_b32_e32 v4, v35
	v_mad_u64_u32 v[36:37], s[6:7], v30, s46, v[4:5]
	v_mov_b32_e32 v4, v37
	v_mad_u64_u32 v[38:39], s[6:7], v30, s47, v[4:5]
	v_mov_b32_e32 v4, v39
	v_mad_u64_u32 v[40:41], s[6:7], v30, s48, v[4:5]
	v_mov_b32_e32 v4, v41
	v_mad_u64_u32 v[42:43], s[6:7], v30, s49, v[4:5]
	v_mov_b32_e32 v4, v43
	v_mad_u64_u32 v[30:31], s[6:7], v30, s50, v[4:5]
	v_cndmask_b32_e32 v33, v42, v38, vcc
	v_cndmask_b32_e32 v4, v30, v40, vcc
	;; [unrolled: 1-line block ×3, first 2 shown]
	v_cndmask_b32_e64 v30, v4, v33, s[0:1]
	v_cndmask_b32_e64 v4, v31, v4, s[0:1]
	v_cndmask_b32_e32 v31, v40, v36, vcc
	v_cndmask_b32_e64 v33, v33, v31, s[0:1]
	v_cndmask_b32_e32 v34, v38, v34, vcc
	v_cndmask_b32_e64 v4, v4, v30, s[2:3]
	v_cndmask_b32_e64 v30, v30, v33, s[2:3]
	v_sub_u32_e32 v35, 32, v44
	v_cndmask_b32_e64 v31, v31, v34, s[0:1]
	v_alignbit_b32 v37, v4, v30, v35
	v_cmp_eq_u32_e64 s[6:7], 0, v44
	v_cndmask_b32_e64 v33, v33, v31, s[2:3]
	v_cndmask_b32_e64 v4, v37, v4, s[6:7]
	v_alignbit_b32 v37, v30, v33, v35
	v_cndmask_b32_e32 v32, v36, v32, vcc
	v_cndmask_b32_e64 v30, v37, v30, s[6:7]
	v_bfe_u32 v39, v4, 29, 1
	v_cndmask_b32_e64 v32, v34, v32, s[0:1]
	v_alignbit_b32 v37, v4, v30, 30
	v_sub_u32_e32 v40, 0, v39
	v_cndmask_b32_e64 v31, v31, v32, s[2:3]
	v_xor_b32_e32 v41, v37, v40
	v_alignbit_b32 v32, v33, v31, v35
	v_cndmask_b32_e64 v32, v32, v33, s[6:7]
	v_ffbh_u32_e32 v33, v41
	v_add_u32_e32 v33, 1, v33
	v_cmp_ne_u32_e32 vcc, v37, v40
	v_alignbit_b32 v30, v30, v32, 30
	v_cndmask_b32_e32 v33, 33, v33, vcc
	v_alignbit_b32 v31, v32, v31, 30
	v_xor_b32_e32 v30, v30, v40
	v_sub_u32_e32 v34, 32, v33
	v_xor_b32_e32 v31, v31, v40
	v_alignbit_b32 v35, v41, v30, v34
	v_alignbit_b32 v30, v30, v31, v34
	;; [unrolled: 1-line block ×3, first 2 shown]
	v_ffbh_u32_e32 v32, v31
	v_min_u32_e32 v32, 32, v32
	v_lshrrev_b32_e32 v38, 29, v4
	v_sub_u32_e32 v34, 31, v32
	v_alignbit_b32 v30, v31, v30, v34
	v_lshlrev_b32_e32 v31, 31, v38
	v_or_b32_e32 v34, 0x33800000, v31
	v_add_lshl_u32 v32, v32, v33, 23
	v_lshrrev_b32_e32 v30, 9, v30
	v_sub_u32_e32 v32, v34, v32
	v_or_b32_e32 v30, v32, v30
	v_alignbit_b32 v32, v33, v35, 9
	v_or_b32_e32 v31, v32, v31
	v_xor_b32_e32 v31, 1.0, v31
	v_mul_f32_e32 v32, 0x3fc90fda, v31
	v_fma_f32 v33, v31, s51, -v32
	v_fmac_f32_e32 v33, 0x33a22168, v31
	v_fmac_f32_e32 v33, 0x3fc90fda, v30
	v_lshrrev_b32_e32 v4, 30, v4
	v_add_f32_e32 v32, v32, v33
	v_add_u32_e32 v4, v39, v4
                                        ; implicit-def: $vgpr33
	s_andn2_saveexec_b64 s[0:1], s[24:25]
	s_cbranch_execz .LBB14_2
	s_branch .LBB14_13
.LBB14_12:                              ;   in Loop: Header=BB14_3 Depth=1
	s_andn2_saveexec_b64 s[0:1], s[24:25]
	s_cbranch_execz .LBB14_2
.LBB14_13:                              ;   in Loop: Header=BB14_3 Depth=1
	v_cvt_i32_f32_e32 v4, v33
	v_fma_f32 v32, v33, s53, |v26|
	v_fmac_f32_e32 v32, 0xb3a22168, v33
	v_fmac_f32_e32 v32, 0xa7c234c4, v33
	s_branch .LBB14_2
.LBB14_14:                              ;   in Loop: Header=BB14_3 Depth=1
                                        ; implicit-def: $vgpr4
	s_branch .LBB14_5
.LBB14_15:
	s_or_b64 exec, exec, s[14:15]
	v_add_u32_e32 v2, s13, v0
	v_cmp_gt_u32_e32 vcc, s12, v2
	s_and_saveexec_b64 s[0:1], vcc
	s_cbranch_execz .LBB14_18
; %bb.16:
	s_load_dword s0, s[4:5], 0x3c
	s_mov_b64 s[2:3], 0
	v_mov_b32_e32 v1, 0
	v_mov_b32_e32 v3, s9
	;; [unrolled: 1-line block ×3, first 2 shown]
	s_waitcnt lgkmcnt(0)
	s_and_b32 s4, s0, 0xffff
.LBB14_17:                              ; =>This Inner Loop Header: Depth=1
	v_add_u32_e32 v0, s28, v2
	v_lshlrev_b64 v[6:7], 2, v[0:1]
	v_add_co_u32_e32 v8, vcc, s8, v6
	v_addc_co_u32_e32 v9, vcc, v3, v7, vcc
	global_load_dword v0, v[8:9], off
	v_add_u32_e32 v2, s4, v2
	v_cmp_le_u32_e32 vcc, s12, v2
	v_add_co_u32_e64 v6, s[0:1], s10, v6
	v_addc_co_u32_e64 v7, s[0:1], v4, v7, s[0:1]
	s_or_b64 s[2:3], vcc, s[2:3]
	s_waitcnt vmcnt(0)
	global_store_dword v[6:7], v0, off
	s_andn2_b64 exec, exec, s[2:3]
	s_cbranch_execnz .LBB14_17
.LBB14_18:
	s_endpgm
	.section	.rodata,"a",@progbits
	.p2align	6, 0x0
	.amdhsa_kernel rope
		.amdhsa_group_segment_fixed_size 0
		.amdhsa_private_segment_fixed_size 0
		.amdhsa_kernarg_size 304
		.amdhsa_user_sgpr_count 6
		.amdhsa_user_sgpr_private_segment_buffer 1
		.amdhsa_user_sgpr_dispatch_ptr 0
		.amdhsa_user_sgpr_queue_ptr 0
		.amdhsa_user_sgpr_kernarg_segment_ptr 1
		.amdhsa_user_sgpr_dispatch_id 0
		.amdhsa_user_sgpr_flat_scratch_init 0
		.amdhsa_user_sgpr_kernarg_preload_length 0
		.amdhsa_user_sgpr_kernarg_preload_offset 0
		.amdhsa_user_sgpr_private_segment_size 0
		.amdhsa_uses_dynamic_stack 0
		.amdhsa_system_sgpr_private_segment_wavefront_offset 0
		.amdhsa_system_sgpr_workgroup_id_x 1
		.amdhsa_system_sgpr_workgroup_id_y 0
		.amdhsa_system_sgpr_workgroup_id_z 0
		.amdhsa_system_sgpr_workgroup_info 0
		.amdhsa_system_vgpr_workitem_id 0
		.amdhsa_next_free_vgpr 46
		.amdhsa_next_free_sgpr 55
		.amdhsa_accum_offset 48
		.amdhsa_reserve_vcc 1
		.amdhsa_reserve_flat_scratch 0
		.amdhsa_float_round_mode_32 0
		.amdhsa_float_round_mode_16_64 0
		.amdhsa_float_denorm_mode_32 3
		.amdhsa_float_denorm_mode_16_64 3
		.amdhsa_dx10_clamp 1
		.amdhsa_ieee_mode 1
		.amdhsa_fp16_overflow 0
		.amdhsa_tg_split 0
		.amdhsa_exception_fp_ieee_invalid_op 0
		.amdhsa_exception_fp_denorm_src 0
		.amdhsa_exception_fp_ieee_div_zero 0
		.amdhsa_exception_fp_ieee_overflow 0
		.amdhsa_exception_fp_ieee_underflow 0
		.amdhsa_exception_fp_ieee_inexact 0
		.amdhsa_exception_int_div_zero 0
	.end_amdhsa_kernel
	.text
.Lfunc_end14:
	.size	rope, .Lfunc_end14-rope
                                        ; -- End function
	.section	.AMDGPU.csdata,"",@progbits
; Kernel info:
; codeLenInByte = 3276
; NumSgprs: 59
; NumVgprs: 46
; NumAgprs: 0
; TotalNumVgprs: 46
; ScratchSize: 0
; MemoryBound: 0
; FloatMode: 240
; IeeeMode: 1
; LDSByteSize: 0 bytes/workgroup (compile time only)
; SGPRBlocks: 7
; VGPRBlocks: 5
; NumSGPRsForWavesPerEU: 59
; NumVGPRsForWavesPerEU: 46
; AccumOffset: 48
; Occupancy: 8
; WaveLimiterHint : 0
; COMPUTE_PGM_RSRC2:SCRATCH_EN: 0
; COMPUTE_PGM_RSRC2:USER_SGPR: 6
; COMPUTE_PGM_RSRC2:TRAP_HANDLER: 0
; COMPUTE_PGM_RSRC2:TGID_X_EN: 1
; COMPUTE_PGM_RSRC2:TGID_Y_EN: 0
; COMPUTE_PGM_RSRC2:TGID_Z_EN: 0
; COMPUTE_PGM_RSRC2:TIDIG_COMP_CNT: 0
; COMPUTE_PGM_RSRC3_GFX90A:ACCUM_OFFSET: 11
; COMPUTE_PGM_RSRC3_GFX90A:TG_SPLIT: 0
	.text
	.protected	argmax                  ; -- Begin function argmax
	.globl	argmax
	.p2align	8
	.type	argmax,@function
argmax:                                 ; @argmax
; %bb.0:
	s_load_dword s12, s[4:5], 0x10
	s_load_dwordx4 s[8:11], s[4:5], 0x0
	v_mov_b32_e32 v1, 0xff7fc99e
	v_mov_b32_e32 v4, 0
	s_waitcnt lgkmcnt(0)
	v_cmp_gt_u32_e32 vcc, s12, v0
	s_and_saveexec_b64 s[2:3], vcc
	s_cbranch_execz .LBB15_4
; %bb.1:
	s_load_dword s0, s[4:5], 0x24
	s_mov_b64 s[6:7], 0
	v_mov_b32_e32 v1, 0xff7fc99e
	v_mov_b32_e32 v3, 0
	v_mov_b32_e32 v5, s9
	s_waitcnt lgkmcnt(0)
	s_and_b32 s9, s0, 0xffff
	v_mov_b32_e32 v4, 0
	v_mov_b32_e32 v2, v0
.LBB15_2:                               ; =>This Inner Loop Header: Depth=1
	v_lshlrev_b64 v[6:7], 2, v[2:3]
	v_add_co_u32_e32 v6, vcc, s8, v6
	v_addc_co_u32_e32 v7, vcc, v5, v7, vcc
	global_load_dword v6, v[6:7], off
	s_waitcnt vmcnt(0)
	v_cmp_gt_f32_e32 vcc, v6, v1
	v_cndmask_b32_e32 v4, v4, v2, vcc
	v_add_u32_e32 v2, s9, v2
	v_cmp_le_u32_e64 s[0:1], s12, v2
	s_or_b64 s[6:7], s[0:1], s[6:7]
	v_cndmask_b32_e32 v1, v1, v6, vcc
	s_andn2_b64 exec, exec, s[6:7]
	s_cbranch_execnz .LBB15_2
; %bb.3:
	s_or_b64 exec, exec, s[6:7]
.LBB15_4:
	s_or_b64 exec, exec, s[2:3]
	v_mbcnt_lo_u32_b32 v2, -1, 0
	v_mbcnt_hi_u32_b32 v2, -1, v2
	v_and_b32_e32 v3, 63, v2
	v_cmp_gt_u32_e32 vcc, 48, v3
	v_cndmask_b32_e64 v5, 0, 1, vcc
	v_lshlrev_b32_e32 v5, 4, v5
	v_add_lshl_u32 v6, v5, v2, 2
	ds_bpermute_b32 v5, v6, v1
	ds_bpermute_b32 v6, v6, v4
	s_waitcnt lgkmcnt(1)
	v_cmp_lt_f32_e64 s[2:3], v1, v5
	v_cmp_nlt_f32_e32 vcc, v1, v5
	s_and_saveexec_b64 s[6:7], vcc
	s_cbranch_execz .LBB15_6
; %bb.5:
	v_cmp_eq_f32_e32 vcc, v1, v5
	s_waitcnt lgkmcnt(0)
	v_cmp_lt_u32_e64 s[0:1], v6, v4
	s_and_b64 s[0:1], vcc, s[0:1]
	s_andn2_b64 s[2:3], s[2:3], exec
	s_and_b64 s[0:1], s[0:1], exec
	s_or_b64 s[2:3], s[2:3], s[0:1]
.LBB15_6:
	s_or_b64 exec, exec, s[6:7]
	s_and_saveexec_b64 s[0:1], s[2:3]
	s_cbranch_execz .LBB15_8
; %bb.7:
	v_mov_b32_e32 v1, v5
	s_waitcnt lgkmcnt(0)
	v_mov_b32_e32 v4, v6
.LBB15_8:
	s_or_b64 exec, exec, s[0:1]
	v_cmp_gt_u32_e32 vcc, 56, v3
	v_cndmask_b32_e64 v5, 0, 1, vcc
	v_lshlrev_b32_e32 v5, 3, v5
	s_waitcnt lgkmcnt(0)
	v_add_lshl_u32 v6, v5, v2, 2
	ds_bpermute_b32 v5, v6, v1
	ds_bpermute_b32 v6, v6, v4
	s_waitcnt lgkmcnt(1)
	v_cmp_lt_f32_e64 s[2:3], v1, v5
	v_cmp_nlt_f32_e32 vcc, v1, v5
	s_and_saveexec_b64 s[6:7], vcc
	s_cbranch_execz .LBB15_10
; %bb.9:
	v_cmp_eq_f32_e32 vcc, v1, v5
	s_waitcnt lgkmcnt(0)
	v_cmp_lt_u32_e64 s[0:1], v6, v4
	s_and_b64 s[0:1], vcc, s[0:1]
	s_andn2_b64 s[2:3], s[2:3], exec
	s_and_b64 s[0:1], s[0:1], exec
	s_or_b64 s[2:3], s[2:3], s[0:1]
.LBB15_10:
	s_or_b64 exec, exec, s[6:7]
	s_and_saveexec_b64 s[0:1], s[2:3]
	s_cbranch_execz .LBB15_12
; %bb.11:
	v_mov_b32_e32 v1, v5
	s_waitcnt lgkmcnt(0)
	v_mov_b32_e32 v4, v6
.LBB15_12:
	s_or_b64 exec, exec, s[0:1]
	v_cmp_gt_u32_e32 vcc, 60, v3
	v_cndmask_b32_e64 v5, 0, 1, vcc
	v_lshlrev_b32_e32 v5, 2, v5
	s_waitcnt lgkmcnt(0)
	;; [unrolled: 30-line block ×3, first 2 shown]
	v_add_lshl_u32 v6, v5, v2, 2
	ds_bpermute_b32 v5, v6, v1
	ds_bpermute_b32 v6, v6, v4
	s_waitcnt lgkmcnt(1)
	v_cmp_lt_f32_e64 s[2:3], v1, v5
	v_cmp_nlt_f32_e32 vcc, v1, v5
	s_and_saveexec_b64 s[6:7], vcc
	s_cbranch_execz .LBB15_18
; %bb.17:
	v_cmp_eq_f32_e32 vcc, v1, v5
	s_waitcnt lgkmcnt(0)
	v_cmp_lt_u32_e64 s[0:1], v6, v4
	s_and_b64 s[0:1], vcc, s[0:1]
	s_andn2_b64 s[2:3], s[2:3], exec
	s_and_b64 s[0:1], s[0:1], exec
	s_or_b64 s[2:3], s[2:3], s[0:1]
.LBB15_18:
	s_or_b64 exec, exec, s[6:7]
	s_and_saveexec_b64 s[0:1], s[2:3]
	s_cbranch_execz .LBB15_20
; %bb.19:
	v_mov_b32_e32 v1, v5
	s_waitcnt lgkmcnt(0)
	v_mov_b32_e32 v4, v6
.LBB15_20:
	s_or_b64 exec, exec, s[0:1]
	v_cmp_ne_u32_e32 vcc, 63, v3
	v_addc_co_u32_e32 v2, vcc, 0, v2, vcc
	v_lshlrev_b32_e32 v3, 2, v2
	ds_bpermute_b32 v2, v3, v1
	ds_bpermute_b32 v3, v3, v4
	s_waitcnt lgkmcnt(1)
	v_cmp_lt_f32_e64 s[2:3], v1, v2
	v_cmp_nlt_f32_e32 vcc, v1, v2
	s_and_saveexec_b64 s[6:7], vcc
	s_cbranch_execz .LBB15_22
; %bb.21:
	v_cmp_eq_f32_e32 vcc, v1, v2
	s_waitcnt lgkmcnt(0)
	v_cmp_lt_u32_e64 s[0:1], v3, v4
	s_and_b64 s[0:1], vcc, s[0:1]
	s_andn2_b64 s[2:3], s[2:3], exec
	s_and_b64 s[0:1], s[0:1], exec
	s_or_b64 s[2:3], s[2:3], s[0:1]
.LBB15_22:
	s_or_b64 exec, exec, s[6:7]
	s_and_saveexec_b64 s[0:1], s[2:3]
	s_cbranch_execz .LBB15_24
; %bb.23:
	s_waitcnt lgkmcnt(0)
	v_mov_b32_e32 v4, v3
	v_mov_b32_e32 v1, v2
.LBB15_24:
	s_or_b64 exec, exec, s[0:1]
	v_and_b32_e32 v2, 31, v0
	v_cmp_eq_u32_e32 vcc, 0, v2
	s_and_saveexec_b64 s[0:1], vcc
	s_cbranch_execz .LBB15_26
; %bb.25:
	v_lshrrev_b32_e32 v2, 3, v0
	ds_write2_b32 v2, v4, v1 offset1:32
.LBB15_26:
	s_or_b64 exec, exec, s[0:1]
	v_cmp_eq_u32_e32 vcc, 0, v0
	s_waitcnt lgkmcnt(0)
	s_barrier
	s_and_saveexec_b64 s[0:1], vcc
	s_cbranch_execz .LBB15_67
; %bb.27:
	s_load_dword s0, s[4:5], 0x24
	v_mov_b32_e32 v1, 0
	ds_read_b32 v0, v1
	s_waitcnt lgkmcnt(0)
	s_and_b32 s0, s0, 0xffff
	s_cmp_lt_u32 s0, 33
	s_cbranch_scc1 .LBB15_66
; %bb.28:
	ds_read_b32 v1, v1 offset:128
	s_add_i32 s0, s0, 31
	s_lshr_b32 s0, s0, 5
	s_add_i32 s2, s0, -1
	s_add_i32 s0, s0, -2
	s_cmp_lt_u32 s0, 3
	s_cbranch_scc1 .LBB15_56
; %bb.29:
	s_and_b32 s3, s2, -4
	s_mov_b32 s5, 0
	s_mov_b32 s4, 4
.LBB15_30:                              ; =>This Inner Loop Header: Depth=1
	v_mov_b32_e32 v2, s4
	ds_read_b32 v2, v2 offset:128
	s_waitcnt lgkmcnt(0)
	v_cmp_ngt_f32_e32 vcc, v2, v1
	s_cbranch_vccz .LBB15_34
; %bb.31:                               ;   in Loop: Header=BB15_30 Depth=1
	v_cmp_neq_f32_e32 vcc, v2, v1
	s_cbranch_vccnz .LBB15_33
; %bb.32:                               ;   in Loop: Header=BB15_30 Depth=1
	v_mov_b32_e32 v3, s4
	ds_read_b32 v3, v3
	s_waitcnt lgkmcnt(0)
	v_cmp_lt_u32_e32 vcc, v3, v0
	v_cndmask_b32_e32 v1, v1, v2, vcc
	v_min_u32_e32 v0, v3, v0
.LBB15_33:                              ;   in Loop: Header=BB15_30 Depth=1
	s_cbranch_execz .LBB15_35
	s_branch .LBB15_36
.LBB15_34:                              ;   in Loop: Header=BB15_30 Depth=1
                                        ; implicit-def: $vgpr0
                                        ; implicit-def: $vgpr1
.LBB15_35:                              ;   in Loop: Header=BB15_30 Depth=1
	v_mov_b32_e32 v0, s4
	ds_read_b32 v0, v0
	v_mov_b32_e32 v1, v2
.LBB15_36:                              ;   in Loop: Header=BB15_30 Depth=1
	v_mov_b32_e32 v2, s4
	ds_read_b32 v2, v2 offset:132
	s_waitcnt lgkmcnt(0)
	v_cmp_gt_f32_e32 vcc, v2, v1
	s_cbranch_vccnz .LBB15_40
; %bb.37:                               ;   in Loop: Header=BB15_30 Depth=1
	v_cmp_neq_f32_e32 vcc, v2, v1
	s_cbranch_vccnz .LBB15_39
; %bb.38:                               ;   in Loop: Header=BB15_30 Depth=1
	v_mov_b32_e32 v3, s4
	ds_read_b32 v3, v3 offset:4
	s_waitcnt lgkmcnt(0)
	v_cmp_lt_u32_e32 vcc, v3, v0
	v_cndmask_b32_e32 v1, v1, v2, vcc
	v_min_u32_e32 v0, v3, v0
.LBB15_39:                              ;   in Loop: Header=BB15_30 Depth=1
	s_cbranch_execz .LBB15_41
	s_branch .LBB15_42
.LBB15_40:                              ;   in Loop: Header=BB15_30 Depth=1
                                        ; implicit-def: $vgpr0
                                        ; implicit-def: $vgpr1
.LBB15_41:                              ;   in Loop: Header=BB15_30 Depth=1
	v_mov_b32_e32 v0, s4
	ds_read_b32 v0, v0 offset:4
	v_mov_b32_e32 v1, v2
.LBB15_42:                              ;   in Loop: Header=BB15_30 Depth=1
	v_mov_b32_e32 v2, s4
	ds_read_b32 v2, v2 offset:136
	s_waitcnt lgkmcnt(0)
	v_cmp_gt_f32_e32 vcc, v2, v1
	s_cbranch_vccnz .LBB15_46
; %bb.43:                               ;   in Loop: Header=BB15_30 Depth=1
	v_cmp_neq_f32_e32 vcc, v2, v1
	s_cbranch_vccnz .LBB15_45
; %bb.44:                               ;   in Loop: Header=BB15_30 Depth=1
	v_mov_b32_e32 v3, s4
	ds_read_b32 v3, v3 offset:8
	s_waitcnt lgkmcnt(0)
	v_cmp_lt_u32_e32 vcc, v3, v0
	v_cndmask_b32_e32 v1, v1, v2, vcc
	v_min_u32_e32 v0, v3, v0
.LBB15_45:                              ;   in Loop: Header=BB15_30 Depth=1
	s_cbranch_execz .LBB15_47
	s_branch .LBB15_48
.LBB15_46:                              ;   in Loop: Header=BB15_30 Depth=1
                                        ; implicit-def: $vgpr0
                                        ; implicit-def: $vgpr1
.LBB15_47:                              ;   in Loop: Header=BB15_30 Depth=1
	v_mov_b32_e32 v0, s4
	ds_read_b32 v0, v0 offset:8
	v_mov_b32_e32 v1, v2
.LBB15_48:                              ;   in Loop: Header=BB15_30 Depth=1
	;; [unrolled: 26-line block ×3, first 2 shown]
	s_add_i32 s0, s5, 4
	s_add_i32 s4, s4, 16
	s_cmp_eq_u32 s3, s0
	s_cbranch_scc1 .LBB15_57
; %bb.55:                               ;   in Loop: Header=BB15_30 Depth=1
	s_mov_b32 s5, s0
	s_branch .LBB15_30
.LBB15_56:
	s_mov_b32 s0, 1
	s_and_b32 s2, s2, 3
	s_cmp_eq_u32 s2, 0
	s_cbranch_scc0 .LBB15_58
	s_branch .LBB15_66
.LBB15_57:
	s_add_i32 s0, s5, 5
	s_and_b32 s2, s2, 3
	s_cmp_eq_u32 s2, 0
	s_cbranch_scc1 .LBB15_66
.LBB15_58:
	s_lshl_b32 s3, s0, 2
	s_branch .LBB15_60
.LBB15_59:                              ;   in Loop: Header=BB15_60 Depth=1
	s_add_i32 s3, s3, 4
	s_add_i32 s2, s2, -1
	s_cmp_lg_u32 s2, 0
	s_cbranch_scc0 .LBB15_66
.LBB15_60:                              ; =>This Inner Loop Header: Depth=1
	v_mov_b32_e32 v2, s3
	ds_read_b32 v2, v2 offset:128
	s_waitcnt lgkmcnt(0)
	v_cmp_gt_f32_e32 vcc, v2, v1
	s_cbranch_vccnz .LBB15_64
; %bb.61:                               ;   in Loop: Header=BB15_60 Depth=1
	v_cmp_neq_f32_e32 vcc, v2, v1
	s_cbranch_vccnz .LBB15_63
; %bb.62:                               ;   in Loop: Header=BB15_60 Depth=1
	v_mov_b32_e32 v3, s3
	ds_read_b32 v3, v3
	s_waitcnt lgkmcnt(0)
	v_cmp_lt_u32_e32 vcc, v3, v0
	v_cndmask_b32_e32 v1, v1, v2, vcc
	v_min_u32_e32 v0, v3, v0
.LBB15_63:                              ;   in Loop: Header=BB15_60 Depth=1
	s_cbranch_execnz .LBB15_59
	s_branch .LBB15_65
.LBB15_64:                              ;   in Loop: Header=BB15_60 Depth=1
                                        ; implicit-def: $vgpr0
                                        ; implicit-def: $vgpr1
.LBB15_65:                              ;   in Loop: Header=BB15_60 Depth=1
	v_mov_b32_e32 v0, s3
	ds_read_b32 v0, v0
	v_mov_b32_e32 v1, v2
	s_branch .LBB15_59
.LBB15_66:
	s_waitcnt lgkmcnt(0)
	v_mov_b32_e32 v1, 0
	global_store_dword v1, v0, s[10:11]
.LBB15_67:
	s_endpgm
	.section	.rodata,"a",@progbits
	.p2align	6, 0x0
	.amdhsa_kernel argmax
		.amdhsa_group_segment_fixed_size 256
		.amdhsa_private_segment_fixed_size 0
		.amdhsa_kernarg_size 280
		.amdhsa_user_sgpr_count 6
		.amdhsa_user_sgpr_private_segment_buffer 1
		.amdhsa_user_sgpr_dispatch_ptr 0
		.amdhsa_user_sgpr_queue_ptr 0
		.amdhsa_user_sgpr_kernarg_segment_ptr 1
		.amdhsa_user_sgpr_dispatch_id 0
		.amdhsa_user_sgpr_flat_scratch_init 0
		.amdhsa_user_sgpr_kernarg_preload_length 0
		.amdhsa_user_sgpr_kernarg_preload_offset 0
		.amdhsa_user_sgpr_private_segment_size 0
		.amdhsa_uses_dynamic_stack 0
		.amdhsa_system_sgpr_private_segment_wavefront_offset 0
		.amdhsa_system_sgpr_workgroup_id_x 1
		.amdhsa_system_sgpr_workgroup_id_y 0
		.amdhsa_system_sgpr_workgroup_id_z 0
		.amdhsa_system_sgpr_workgroup_info 0
		.amdhsa_system_vgpr_workitem_id 0
		.amdhsa_next_free_vgpr 8
		.amdhsa_next_free_sgpr 13
		.amdhsa_accum_offset 8
		.amdhsa_reserve_vcc 1
		.amdhsa_reserve_flat_scratch 0
		.amdhsa_float_round_mode_32 0
		.amdhsa_float_round_mode_16_64 0
		.amdhsa_float_denorm_mode_32 3
		.amdhsa_float_denorm_mode_16_64 3
		.amdhsa_dx10_clamp 1
		.amdhsa_ieee_mode 1
		.amdhsa_fp16_overflow 0
		.amdhsa_tg_split 0
		.amdhsa_exception_fp_ieee_invalid_op 0
		.amdhsa_exception_fp_denorm_src 0
		.amdhsa_exception_fp_ieee_div_zero 0
		.amdhsa_exception_fp_ieee_overflow 0
		.amdhsa_exception_fp_ieee_underflow 0
		.amdhsa_exception_fp_ieee_inexact 0
		.amdhsa_exception_int_div_zero 0
	.end_amdhsa_kernel
	.text
.Lfunc_end15:
	.size	argmax, .Lfunc_end15-argmax
                                        ; -- End function
	.section	.AMDGPU.csdata,"",@progbits
; Kernel info:
; codeLenInByte = 1468
; NumSgprs: 17
; NumVgprs: 8
; NumAgprs: 0
; TotalNumVgprs: 8
; ScratchSize: 0
; MemoryBound: 0
; FloatMode: 240
; IeeeMode: 1
; LDSByteSize: 256 bytes/workgroup (compile time only)
; SGPRBlocks: 2
; VGPRBlocks: 0
; NumSGPRsForWavesPerEU: 17
; NumVGPRsForWavesPerEU: 8
; AccumOffset: 8
; Occupancy: 8
; WaveLimiterHint : 0
; COMPUTE_PGM_RSRC2:SCRATCH_EN: 0
; COMPUTE_PGM_RSRC2:USER_SGPR: 6
; COMPUTE_PGM_RSRC2:TRAP_HANDLER: 0
; COMPUTE_PGM_RSRC2:TGID_X_EN: 1
; COMPUTE_PGM_RSRC2:TGID_Y_EN: 0
; COMPUTE_PGM_RSRC2:TGID_Z_EN: 0
; COMPUTE_PGM_RSRC2:TIDIG_COMP_CNT: 0
; COMPUTE_PGM_RSRC3_GFX90A:ACCUM_OFFSET: 1
; COMPUTE_PGM_RSRC3_GFX90A:TG_SPLIT: 0
	.text
	.protected	moe_weighted_acc        ; -- Begin function moe_weighted_acc
	.globl	moe_weighted_acc
	.p2align	8
	.type	moe_weighted_acc,@function
moe_weighted_acc:                       ; @moe_weighted_acc
; %bb.0:
	s_load_dword s0, s[4:5], 0x34
	s_load_dwordx4 s[8:11], s[4:5], 0x18
	s_waitcnt lgkmcnt(0)
	s_and_b32 s0, s0, 0xffff
	s_mul_i32 s6, s6, s0
	v_add_u32_e32 v0, s6, v0
	v_cmp_gt_u32_e32 vcc, s8, v0
	s_and_saveexec_b64 s[0:1], vcc
	s_cbranch_execz .LBB16_7
; %bb.1:
	s_load_dwordx4 s[0:3], s[4:5], 0x0
	s_load_dwordx2 s[6:7], s[4:5], 0x10
	s_cmp_lg_u32 s9, 0
	s_mov_b32 s11, 0
	s_cbranch_scc0 .LBB16_8
; %bb.2:
	v_mov_b32_e32 v1, 0
	v_lshlrev_b64 v[4:5], 2, v[0:1]
	s_waitcnt lgkmcnt(0)
	v_mov_b32_e32 v6, s3
	v_add_co_u32_e32 v4, vcc, s2, v4
	s_lshl_b64 s[2:3], s[10:11], 2
	v_pk_mov_b32 v[2:3], v[0:1], v[0:1] op_sel:[0,1]
	v_addc_co_u32_e32 v5, vcc, v6, v5, vcc
	v_mov_b32_e32 v6, s3
	s_mov_b32 s3, 0
.LBB16_3:                               ; =>This Inner Loop Header: Depth=1
	global_load_dword v7, v[4:5], off
	s_add_i32 s10, s9, s3
	s_lshl_b64 s[4:5], s[10:11], 2
	s_add_u32 s4, s6, s4
	s_addc_u32 s5, s7, s5
	s_load_dword s4, s[4:5], 0x0
	v_add_co_u32_e32 v4, vcc, s2, v4
	s_add_i32 s3, s3, 1
	v_addc_co_u32_e32 v5, vcc, v5, v6, vcc
	s_cmp_eq_u32 s9, s3
	s_waitcnt vmcnt(0) lgkmcnt(0)
	v_fmac_f32_e32 v1, s4, v7
	s_cbranch_scc0 .LBB16_3
; %bb.4:
	s_branch .LBB16_6
.LBB16_5:
	v_mov_b32_e32 v1, 0
	v_pk_mov_b32 v[2:3], v[0:1], v[0:1] op_sel:[0,1]
.LBB16_6:
	v_lshlrev_b64 v[2:3], 2, v[2:3]
	v_mov_b32_e32 v0, s1
	v_add_co_u32_e32 v2, vcc, s0, v2
	v_addc_co_u32_e32 v3, vcc, v0, v3, vcc
	global_load_dword v0, v[2:3], off
	s_waitcnt vmcnt(0)
	v_add_f32_e32 v0, v1, v0
	global_store_dword v[2:3], v0, off
.LBB16_7:
	s_endpgm
.LBB16_8:
	s_waitcnt lgkmcnt(0)
                                        ; implicit-def: $vgpr2_vgpr3
	s_cbranch_execnz .LBB16_5
	s_branch .LBB16_6
	.section	.rodata,"a",@progbits
	.p2align	6, 0x0
	.amdhsa_kernel moe_weighted_acc
		.amdhsa_group_segment_fixed_size 0
		.amdhsa_private_segment_fixed_size 0
		.amdhsa_kernarg_size 296
		.amdhsa_user_sgpr_count 6
		.amdhsa_user_sgpr_private_segment_buffer 1
		.amdhsa_user_sgpr_dispatch_ptr 0
		.amdhsa_user_sgpr_queue_ptr 0
		.amdhsa_user_sgpr_kernarg_segment_ptr 1
		.amdhsa_user_sgpr_dispatch_id 0
		.amdhsa_user_sgpr_flat_scratch_init 0
		.amdhsa_user_sgpr_kernarg_preload_length 0
		.amdhsa_user_sgpr_kernarg_preload_offset 0
		.amdhsa_user_sgpr_private_segment_size 0
		.amdhsa_uses_dynamic_stack 0
		.amdhsa_system_sgpr_private_segment_wavefront_offset 0
		.amdhsa_system_sgpr_workgroup_id_x 1
		.amdhsa_system_sgpr_workgroup_id_y 0
		.amdhsa_system_sgpr_workgroup_id_z 0
		.amdhsa_system_sgpr_workgroup_info 0
		.amdhsa_system_vgpr_workitem_id 0
		.amdhsa_next_free_vgpr 8
		.amdhsa_next_free_sgpr 12
		.amdhsa_accum_offset 8
		.amdhsa_reserve_vcc 1
		.amdhsa_reserve_flat_scratch 0
		.amdhsa_float_round_mode_32 0
		.amdhsa_float_round_mode_16_64 0
		.amdhsa_float_denorm_mode_32 3
		.amdhsa_float_denorm_mode_16_64 3
		.amdhsa_dx10_clamp 1
		.amdhsa_ieee_mode 1
		.amdhsa_fp16_overflow 0
		.amdhsa_tg_split 0
		.amdhsa_exception_fp_ieee_invalid_op 0
		.amdhsa_exception_fp_denorm_src 0
		.amdhsa_exception_fp_ieee_div_zero 0
		.amdhsa_exception_fp_ieee_overflow 0
		.amdhsa_exception_fp_ieee_underflow 0
		.amdhsa_exception_fp_ieee_inexact 0
		.amdhsa_exception_int_div_zero 0
	.end_amdhsa_kernel
	.text
.Lfunc_end16:
	.size	moe_weighted_acc, .Lfunc_end16-moe_weighted_acc
                                        ; -- End function
	.section	.AMDGPU.csdata,"",@progbits
; Kernel info:
; codeLenInByte = 260
; NumSgprs: 16
; NumVgprs: 8
; NumAgprs: 0
; TotalNumVgprs: 8
; ScratchSize: 0
; MemoryBound: 0
; FloatMode: 240
; IeeeMode: 1
; LDSByteSize: 0 bytes/workgroup (compile time only)
; SGPRBlocks: 1
; VGPRBlocks: 0
; NumSGPRsForWavesPerEU: 16
; NumVGPRsForWavesPerEU: 8
; AccumOffset: 8
; Occupancy: 8
; WaveLimiterHint : 0
; COMPUTE_PGM_RSRC2:SCRATCH_EN: 0
; COMPUTE_PGM_RSRC2:USER_SGPR: 6
; COMPUTE_PGM_RSRC2:TRAP_HANDLER: 0
; COMPUTE_PGM_RSRC2:TGID_X_EN: 1
; COMPUTE_PGM_RSRC2:TGID_Y_EN: 0
; COMPUTE_PGM_RSRC2:TGID_Z_EN: 0
; COMPUTE_PGM_RSRC2:TIDIG_COMP_CNT: 0
; COMPUTE_PGM_RSRC3_GFX90A:ACCUM_OFFSET: 1
; COMPUTE_PGM_RSRC3_GFX90A:TG_SPLIT: 0
	.text
	.protected	moe_weighted_acc_scaled ; -- Begin function moe_weighted_acc_scaled
	.globl	moe_weighted_acc_scaled
	.p2align	8
	.type	moe_weighted_acc_scaled,@function
moe_weighted_acc_scaled:                ; @moe_weighted_acc_scaled
; %bb.0:
	s_load_dword s0, s[4:5], 0x3c
	s_load_dwordx4 s[8:11], s[4:5], 0x20
	s_waitcnt lgkmcnt(0)
	s_and_b32 s0, s0, 0xffff
	s_mul_i32 s6, s6, s0
	v_add_u32_e32 v0, s6, v0
	v_cmp_gt_u32_e32 vcc, s8, v0
	s_and_saveexec_b64 s[0:1], vcc
	s_cbranch_execz .LBB17_7
; %bb.1:
	s_load_dwordx8 s[0:7], s[4:5], 0x0
	s_cmp_lg_u32 s9, 0
	s_mov_b32 s11, 0
	s_cbranch_scc0 .LBB17_8
; %bb.2:
	v_mov_b32_e32 v1, 0
	v_lshlrev_b64 v[4:5], 2, v[0:1]
	s_waitcnt lgkmcnt(0)
	v_mov_b32_e32 v6, s3
	v_add_co_u32_e32 v4, vcc, s2, v4
	s_lshl_b64 s[2:3], s[10:11], 2
	v_pk_mov_b32 v[2:3], v[0:1], v[0:1] op_sel:[0,1]
	v_addc_co_u32_e32 v5, vcc, v6, v5, vcc
	v_mov_b32_e32 v6, s3
	s_mov_b64 s[12:13], s[4:5]
	s_mov_b32 s3, 0
.LBB17_3:                               ; =>This Inner Loop Header: Depth=1
	global_load_dword v7, v[4:5], off
	s_add_i32 s10, s9, s3
	s_lshl_b64 s[14:15], s[10:11], 2
	s_load_dword s10, s[12:13], 0x0
	s_add_u32 s14, s4, s14
	s_addc_u32 s15, s5, s15
	s_load_dword s8, s[14:15], 0x0
	v_add_co_u32_e32 v4, vcc, s2, v4
	s_waitcnt lgkmcnt(0)
	s_lshl_b64 s[14:15], s[10:11], 2
	s_add_u32 s14, s6, s14
	s_addc_u32 s15, s7, s15
	s_load_dword s10, s[14:15], 0x0
	s_add_i32 s3, s3, 1
	s_add_u32 s12, s12, 4
	s_addc_u32 s13, s13, 0
	v_addc_co_u32_e32 v5, vcc, v5, v6, vcc
	s_waitcnt lgkmcnt(0)
	v_mov_b32_e32 v8, s10
	v_mul_f32_e32 v8, s8, v8
	s_cmp_eq_u32 s9, s3
	s_waitcnt vmcnt(0)
	v_fmac_f32_e32 v1, v8, v7
	s_cbranch_scc0 .LBB17_3
; %bb.4:
	s_branch .LBB17_6
.LBB17_5:
	v_mov_b32_e32 v1, 0
	v_pk_mov_b32 v[2:3], v[0:1], v[0:1] op_sel:[0,1]
.LBB17_6:
	v_lshlrev_b64 v[2:3], 2, v[2:3]
	v_mov_b32_e32 v0, s1
	v_add_co_u32_e32 v2, vcc, s0, v2
	v_addc_co_u32_e32 v3, vcc, v0, v3, vcc
	global_load_dword v0, v[2:3], off
	s_waitcnt vmcnt(0)
	v_add_f32_e32 v0, v1, v0
	global_store_dword v[2:3], v0, off
.LBB17_7:
	s_endpgm
.LBB17_8:
	s_waitcnt lgkmcnt(0)
                                        ; implicit-def: $vgpr2_vgpr3
	s_cbranch_execnz .LBB17_5
	s_branch .LBB17_6
	.section	.rodata,"a",@progbits
	.p2align	6, 0x0
	.amdhsa_kernel moe_weighted_acc_scaled
		.amdhsa_group_segment_fixed_size 0
		.amdhsa_private_segment_fixed_size 0
		.amdhsa_kernarg_size 304
		.amdhsa_user_sgpr_count 6
		.amdhsa_user_sgpr_private_segment_buffer 1
		.amdhsa_user_sgpr_dispatch_ptr 0
		.amdhsa_user_sgpr_queue_ptr 0
		.amdhsa_user_sgpr_kernarg_segment_ptr 1
		.amdhsa_user_sgpr_dispatch_id 0
		.amdhsa_user_sgpr_flat_scratch_init 0
		.amdhsa_user_sgpr_kernarg_preload_length 0
		.amdhsa_user_sgpr_kernarg_preload_offset 0
		.amdhsa_user_sgpr_private_segment_size 0
		.amdhsa_uses_dynamic_stack 0
		.amdhsa_system_sgpr_private_segment_wavefront_offset 0
		.amdhsa_system_sgpr_workgroup_id_x 1
		.amdhsa_system_sgpr_workgroup_id_y 0
		.amdhsa_system_sgpr_workgroup_id_z 0
		.amdhsa_system_sgpr_workgroup_info 0
		.amdhsa_system_vgpr_workitem_id 0
		.amdhsa_next_free_vgpr 9
		.amdhsa_next_free_sgpr 16
		.amdhsa_accum_offset 12
		.amdhsa_reserve_vcc 1
		.amdhsa_reserve_flat_scratch 0
		.amdhsa_float_round_mode_32 0
		.amdhsa_float_round_mode_16_64 0
		.amdhsa_float_denorm_mode_32 3
		.amdhsa_float_denorm_mode_16_64 3
		.amdhsa_dx10_clamp 1
		.amdhsa_ieee_mode 1
		.amdhsa_fp16_overflow 0
		.amdhsa_tg_split 0
		.amdhsa_exception_fp_ieee_invalid_op 0
		.amdhsa_exception_fp_denorm_src 0
		.amdhsa_exception_fp_ieee_div_zero 0
		.amdhsa_exception_fp_ieee_overflow 0
		.amdhsa_exception_fp_ieee_underflow 0
		.amdhsa_exception_fp_ieee_inexact 0
		.amdhsa_exception_int_div_zero 0
	.end_amdhsa_kernel
	.text
.Lfunc_end17:
	.size	moe_weighted_acc_scaled, .Lfunc_end17-moe_weighted_acc_scaled
                                        ; -- End function
	.section	.AMDGPU.csdata,"",@progbits
; Kernel info:
; codeLenInByte = 308
; NumSgprs: 20
; NumVgprs: 9
; NumAgprs: 0
; TotalNumVgprs: 9
; ScratchSize: 0
; MemoryBound: 0
; FloatMode: 240
; IeeeMode: 1
; LDSByteSize: 0 bytes/workgroup (compile time only)
; SGPRBlocks: 2
; VGPRBlocks: 1
; NumSGPRsForWavesPerEU: 20
; NumVGPRsForWavesPerEU: 9
; AccumOffset: 12
; Occupancy: 8
; WaveLimiterHint : 1
; COMPUTE_PGM_RSRC2:SCRATCH_EN: 0
; COMPUTE_PGM_RSRC2:USER_SGPR: 6
; COMPUTE_PGM_RSRC2:TRAP_HANDLER: 0
; COMPUTE_PGM_RSRC2:TGID_X_EN: 1
; COMPUTE_PGM_RSRC2:TGID_Y_EN: 0
; COMPUTE_PGM_RSRC2:TGID_Z_EN: 0
; COMPUTE_PGM_RSRC2:TIDIG_COMP_CNT: 0
; COMPUTE_PGM_RSRC3_GFX90A:ACCUM_OFFSET: 2
; COMPUTE_PGM_RSRC3_GFX90A:TG_SPLIT: 0
	.text
	.protected	ssm_conv1d              ; -- Begin function ssm_conv1d
	.globl	ssm_conv1d
	.p2align	8
	.type	ssm_conv1d,@function
ssm_conv1d:                             ; @ssm_conv1d
; %bb.0:
	s_load_dword s0, s[4:5], 0x3c
	s_load_dwordx4 s[8:11], s[4:5], 0x20
	s_waitcnt lgkmcnt(0)
	s_and_b32 s0, s0, 0xffff
	s_mul_i32 s6, s6, s0
	v_add_u32_e32 v2, s6, v0
	v_cmp_gt_u32_e32 vcc, s8, v2
	s_and_saveexec_b64 s[0:1], vcc
	s_cbranch_execz .LBB18_23
; %bb.1:
	s_load_dwordx8 s[0:7], s[4:5], 0x0
	v_mov_b32_e32 v3, 0
	v_lshlrev_b64 v[0:1], 2, v[2:3]
	s_cmp_lg_u32 s9, 0
	s_mov_b32 s13, 0
	s_waitcnt lgkmcnt(0)
	v_mov_b32_e32 v5, s1
	v_add_co_u32_e32 v4, vcc, s0, v0
	v_addc_co_u32_e32 v5, vcc, v5, v1, vcc
	global_load_dword v4, v[4:5], off
	s_cbranch_scc0 .LBB18_24
; %bb.2:
	s_add_i32 s20, s9, -1
	s_cmp_lg_u32 s10, 0
	s_cselect_b64 s[0:1], -1, 0
	v_mov_b32_e32 v5, s5
	v_add_co_u32_e32 v6, vcc, s4, v0
	v_mul_lo_u32 v8, v2, s9
	v_cndmask_b32_e64 v2, 0, 1, s[0:1]
	v_addc_co_u32_e32 v7, vcc, v5, v1, vcc
	s_mov_b32 s12, s8
	v_cmp_ne_u32_e64 s[0:1], 1, v2
	s_mov_b32 s10, 0x7f800000
	s_mov_b32 s21, 0x7fc000
	v_mov_b32_e32 v5, 0
	s_mov_b32 s22, s13
	s_branch .LBB18_4
.LBB18_3:                               ;   in Loop: Header=BB18_4 Depth=1
	s_add_i32 s22, s22, 1
	s_cmp_eq_u32 s9, s22
	s_waitcnt vmcnt(0)
	v_fmac_f32_e32 v5, v9, v2
	s_cbranch_scc1 .LBB18_20
.LBB18_4:                               ; =>This Inner Loop Header: Depth=1
	s_and_b64 vcc, exec, s[0:1]
	v_add_u32_e32 v2, s22, v8
	s_cbranch_vccnz .LBB18_19
; %bb.5:                                ;   in Loop: Header=BB18_4 Depth=1
	v_lshlrev_b64 v[10:11], 1, v[2:3]
	v_mov_b32_e32 v9, s3
	v_add_co_u32_e32 v10, vcc, s2, v10
	v_addc_co_u32_e32 v11, vcc, v9, v11, vcc
	global_load_ushort v10, v[10:11], off
	s_waitcnt vmcnt(0)
	v_lshrrev_b32_e32 v11, 15, v10
	v_bfe_u32 v12, v10, 10, 5
	v_cmp_lt_i32_e32 vcc, 30, v12
	v_lshlrev_b32_e32 v9, 31, v11
	s_and_saveexec_b64 s[14:15], vcc
	s_xor_b64 s[14:15], exec, s[14:15]
; %bb.6:                                ;   in Loop: Header=BB18_4 Depth=1
	v_lshlrev_b32_e32 v9, 31, v11
	v_lshlrev_b32_e32 v10, 13, v10
	v_or3_b32 v9, v9, v10, s10
                                        ; implicit-def: $vgpr10
                                        ; implicit-def: $vgpr12
                                        ; implicit-def: $vgpr11
; %bb.7:                                ;   in Loop: Header=BB18_4 Depth=1
	s_andn2_saveexec_b64 s[14:15], s[14:15]
	s_cbranch_execz .LBB18_15
; %bb.8:                                ;   in Loop: Header=BB18_4 Depth=1
	v_and_b32_e32 v13, 0x3ff, v10
	v_cmp_ne_u32_e32 vcc, 0, v12
	s_and_saveexec_b64 s[16:17], vcc
	s_xor_b64 s[16:17], exec, s[16:17]
; %bb.9:                                ;   in Loop: Header=BB18_4 Depth=1
	v_lshlrev_b32_e32 v9, 31, v11
	v_lshlrev_b32_e32 v10, 23, v12
	;; [unrolled: 1-line block ×3, first 2 shown]
	v_or3_b32 v9, v10, v9, v11
	v_add_u32_e32 v9, 0x38000000, v9
                                        ; implicit-def: $vgpr13
                                        ; implicit-def: $vgpr10
                                        ; implicit-def: $vgpr11
; %bb.10:                               ;   in Loop: Header=BB18_4 Depth=1
	s_andn2_saveexec_b64 s[16:17], s[16:17]
	s_cbranch_execz .LBB18_14
; %bb.11:                               ;   in Loop: Header=BB18_4 Depth=1
	v_cmp_ne_u32_e32 vcc, 0, v13
	s_and_saveexec_b64 s[18:19], vcc
	s_xor_b64 s[18:19], exec, s[18:19]
; %bb.12:                               ;   in Loop: Header=BB18_4 Depth=1
	v_ffbh_u32_e32 v9, v13
	v_xor_b32_e32 v12, 31, v9
	v_sub_u32_e32 v12, 9, v12
	v_lshlrev_b32_e32 v10, v12, v10
	v_lshlrev_b32_e32 v11, 31, v11
	;; [unrolled: 1-line block ×4, first 2 shown]
	v_and_or_b32 v10, v10, s21, v11
	v_sub_u32_e32 v9, v10, v9
	v_add_u32_e32 v9, 0x43000000, v9
; %bb.13:                               ;   in Loop: Header=BB18_4 Depth=1
	s_andn2_saveexec_b64 s[18:19], s[18:19]
	s_or_b64 exec, exec, s[18:19]
.LBB18_14:                              ;   in Loop: Header=BB18_4 Depth=1
	s_or_b64 exec, exec, s[16:17]
.LBB18_15:                              ;   in Loop: Header=BB18_4 Depth=1
	s_or_b64 exec, exec, s[14:15]
	s_branch .LBB18_17
.LBB18_16:                              ;   in Loop: Header=BB18_4 Depth=1
	v_lshlrev_b64 v[10:11], 2, v[2:3]
	v_mov_b32_e32 v2, s3
	v_add_co_u32_e32 v10, vcc, s2, v10
	v_addc_co_u32_e32 v11, vcc, v2, v11, vcc
	global_load_dword v9, v[10:11], off
.LBB18_17:                              ;   in Loop: Header=BB18_4 Depth=1
	s_cmp_ge_u32 s22, s20
	s_waitcnt vmcnt(0)
	v_mov_b32_e32 v2, v4
	s_cbranch_scc1 .LBB18_3
; %bb.18:                               ;   in Loop: Header=BB18_4 Depth=1
	s_add_i32 s14, s11, s22
	s_cmp_ge_u32 s14, s20
	s_cselect_b32 s15, s20, 0
	s_sub_i32 s14, s14, s15
	s_mul_hi_u32 s15, s14, s12
	s_mul_i32 s14, s14, s12
	s_lshl_b64 s[14:15], s[14:15], 2
	v_mov_b32_e32 v2, s15
	v_add_co_u32_e32 v10, vcc, s14, v6
	v_addc_co_u32_e32 v11, vcc, v7, v2, vcc
	global_load_dword v2, v[10:11], off
	s_branch .LBB18_3
.LBB18_19:                              ;   in Loop: Header=BB18_4 Depth=1
                                        ; implicit-def: $vgpr9
	s_cbranch_execnz .LBB18_16
	s_branch .LBB18_17
.LBB18_20:
	s_branch .LBB18_22
.LBB18_21:
	s_mov_b32 s9, 0
	v_mov_b32_e32 v5, 0
	s_mov_b64 s[12:13], s[8:9]
.LBB18_22:
	v_mul_f32_e32 v2, 0xbfb8aa3b, v5
	s_mov_b32 s0, 0xbfb8aa3b
	v_rndne_f32_e32 v3, v2
	v_sub_f32_e32 v6, v2, v3
	v_fma_f32 v2, v5, s0, -v2
	v_fmac_f32_e32 v2, 0xb2a5705f, v5
	v_add_f32_e32 v2, v6, v2
	v_exp_f32_e32 v2, v2
	v_cvt_i32_f32_e32 v3, v3
	s_mov_b32 s0, 0x42ce8ed0
	v_cmp_nlt_f32_e32 vcc, s0, v5
	s_mov_b32 s0, 0xc2b17218
	v_ldexp_f32 v2, v2, v3
	v_cndmask_b32_e32 v2, 0, v2, vcc
	v_mov_b32_e32 v3, 0x7f800000
	v_cmp_ngt_f32_e32 vcc, s0, v5
	v_cndmask_b32_e32 v2, v3, v2, vcc
	v_add_f32_e32 v2, 1.0, v2
	v_div_scale_f32 v3, s[0:1], v2, v2, v5
	v_rcp_f32_e32 v6, v3
	s_mul_i32 s0, s13, s11
	s_mul_hi_u32 s1, s12, s11
	s_add_i32 s1, s1, s0
	v_fma_f32 v7, -v3, v6, 1.0
	v_fmac_f32_e32 v6, v7, v6
	v_div_scale_f32 v7, vcc, v5, v2, v5
	v_mul_f32_e32 v8, v7, v6
	v_fma_f32 v9, -v3, v8, v7
	v_fmac_f32_e32 v8, v9, v6
	v_fma_f32 v3, -v3, v8, v7
	s_mul_i32 s0, s12, s11
	v_div_fmas_f32 v3, v3, v6, v8
	s_lshl_b64 s[0:1], s[0:1], 2
	v_div_fixup_f32 v5, v3, v2, v5
	v_mov_b32_e32 v3, s7
	v_add_co_u32_e32 v2, vcc, s6, v0
	s_add_u32 s0, s4, s0
	v_addc_co_u32_e32 v3, vcc, v3, v1, vcc
	s_addc_u32 s1, s5, s1
	global_store_dword v[2:3], v5, off
	v_mov_b32_e32 v2, s1
	v_add_co_u32_e32 v0, vcc, s0, v0
	v_addc_co_u32_e32 v1, vcc, v2, v1, vcc
	s_waitcnt vmcnt(1)
	global_store_dword v[0:1], v4, off
.LBB18_23:
	s_endpgm
.LBB18_24:
                                        ; implicit-def: $vgpr5
                                        ; implicit-def: $sgpr12_sgpr13
	s_cbranch_execnz .LBB18_21
	s_branch .LBB18_22
	.section	.rodata,"a",@progbits
	.p2align	6, 0x0
	.amdhsa_kernel ssm_conv1d
		.amdhsa_group_segment_fixed_size 0
		.amdhsa_private_segment_fixed_size 0
		.amdhsa_kernarg_size 304
		.amdhsa_user_sgpr_count 6
		.amdhsa_user_sgpr_private_segment_buffer 1
		.amdhsa_user_sgpr_dispatch_ptr 0
		.amdhsa_user_sgpr_queue_ptr 0
		.amdhsa_user_sgpr_kernarg_segment_ptr 1
		.amdhsa_user_sgpr_dispatch_id 0
		.amdhsa_user_sgpr_flat_scratch_init 0
		.amdhsa_user_sgpr_kernarg_preload_length 0
		.amdhsa_user_sgpr_kernarg_preload_offset 0
		.amdhsa_user_sgpr_private_segment_size 0
		.amdhsa_uses_dynamic_stack 0
		.amdhsa_system_sgpr_private_segment_wavefront_offset 0
		.amdhsa_system_sgpr_workgroup_id_x 1
		.amdhsa_system_sgpr_workgroup_id_y 0
		.amdhsa_system_sgpr_workgroup_id_z 0
		.amdhsa_system_sgpr_workgroup_info 0
		.amdhsa_system_vgpr_workitem_id 0
		.amdhsa_next_free_vgpr 14
		.amdhsa_next_free_sgpr 23
		.amdhsa_accum_offset 16
		.amdhsa_reserve_vcc 1
		.amdhsa_reserve_flat_scratch 0
		.amdhsa_float_round_mode_32 0
		.amdhsa_float_round_mode_16_64 0
		.amdhsa_float_denorm_mode_32 3
		.amdhsa_float_denorm_mode_16_64 3
		.amdhsa_dx10_clamp 1
		.amdhsa_ieee_mode 1
		.amdhsa_fp16_overflow 0
		.amdhsa_tg_split 0
		.amdhsa_exception_fp_ieee_invalid_op 0
		.amdhsa_exception_fp_denorm_src 0
		.amdhsa_exception_fp_ieee_div_zero 0
		.amdhsa_exception_fp_ieee_overflow 0
		.amdhsa_exception_fp_ieee_underflow 0
		.amdhsa_exception_fp_ieee_inexact 0
		.amdhsa_exception_int_div_zero 0
	.end_amdhsa_kernel
	.text
.Lfunc_end18:
	.size	ssm_conv1d, .Lfunc_end18-ssm_conv1d
                                        ; -- End function
	.section	.AMDGPU.csdata,"",@progbits
; Kernel info:
; codeLenInByte = 816
; NumSgprs: 27
; NumVgprs: 14
; NumAgprs: 0
; TotalNumVgprs: 14
; ScratchSize: 0
; MemoryBound: 0
; FloatMode: 240
; IeeeMode: 1
; LDSByteSize: 0 bytes/workgroup (compile time only)
; SGPRBlocks: 3
; VGPRBlocks: 1
; NumSGPRsForWavesPerEU: 27
; NumVGPRsForWavesPerEU: 14
; AccumOffset: 16
; Occupancy: 8
; WaveLimiterHint : 0
; COMPUTE_PGM_RSRC2:SCRATCH_EN: 0
; COMPUTE_PGM_RSRC2:USER_SGPR: 6
; COMPUTE_PGM_RSRC2:TRAP_HANDLER: 0
; COMPUTE_PGM_RSRC2:TGID_X_EN: 1
; COMPUTE_PGM_RSRC2:TGID_Y_EN: 0
; COMPUTE_PGM_RSRC2:TGID_Z_EN: 0
; COMPUTE_PGM_RSRC2:TIDIG_COMP_CNT: 0
; COMPUTE_PGM_RSRC3_GFX90A:ACCUM_OFFSET: 3
; COMPUTE_PGM_RSRC3_GFX90A:TG_SPLIT: 0
	.text
	.protected	ssm_gated_norm          ; -- Begin function ssm_gated_norm
	.globl	ssm_gated_norm
	.p2align	8
	.type	ssm_gated_norm,@function
ssm_gated_norm:                         ; @ssm_gated_norm
; %bb.0:
	s_load_dwordx4 s[16:19], s[4:5], 0x28
	s_load_dwordx8 s[8:15], s[4:5], 0x0
	v_mov_b32_e32 v4, 0
	s_waitcnt lgkmcnt(0)
	s_mul_i32 s19, s16, s6
	v_cmp_gt_u32_e64 s[0:1], s16, v0
	s_and_saveexec_b64 s[2:3], s[0:1]
	s_cbranch_execz .LBB19_4
; %bb.1:
	s_load_dword s20, s[4:5], 0x44
	s_mov_b64 s[6:7], 0
	v_mov_b32_e32 v3, 0
	v_mov_b32_e32 v1, s9
	;; [unrolled: 1-line block ×3, first 2 shown]
	s_waitcnt lgkmcnt(0)
	s_and_b32 s20, s20, 0xffff
	v_mov_b32_e32 v5, v0
.LBB19_2:                               ; =>This Inner Loop Header: Depth=1
	v_add_u32_e32 v2, s19, v5
	v_lshlrev_b64 v[6:7], 2, v[2:3]
	v_add_co_u32_e32 v6, vcc, s8, v6
	v_addc_co_u32_e32 v7, vcc, v1, v7, vcc
	global_load_dword v2, v[6:7], off
	v_add_u32_e32 v5, s20, v5
	v_cmp_le_u32_e32 vcc, s16, v5
	s_or_b64 s[6:7], vcc, s[6:7]
	s_waitcnt vmcnt(0)
	v_fmac_f32_e32 v4, v2, v2
	s_andn2_b64 exec, exec, s[6:7]
	s_cbranch_execnz .LBB19_2
; %bb.3:
	s_or_b64 exec, exec, s[6:7]
.LBB19_4:
	s_or_b64 exec, exec, s[2:3]
	v_mbcnt_lo_u32_b32 v1, -1, 0
	v_mbcnt_hi_u32_b32 v6, -1, v1
	v_and_b32_e32 v7, 63, v6
	v_cmp_gt_u32_e32 vcc, 48, v7
	v_cndmask_b32_e64 v1, 0, 1, vcc
	v_lshlrev_b32_e32 v1, 4, v1
	v_add_lshl_u32 v1, v1, v6, 2
	ds_bpermute_b32 v2, v1, v4
	v_cmp_gt_u32_e32 vcc, 56, v7
	v_cndmask_b32_e64 v3, 0, 1, vcc
	v_lshlrev_b32_e32 v3, 3, v3
	v_cmp_gt_u32_e32 vcc, 60, v7
	s_waitcnt lgkmcnt(0)
	v_add_f32_e32 v4, v4, v2
	v_add_lshl_u32 v2, v3, v6, 2
	ds_bpermute_b32 v3, v2, v4
	v_cndmask_b32_e64 v5, 0, 1, vcc
	v_lshlrev_b32_e32 v5, 2, v5
	v_cmp_gt_u32_e32 vcc, 62, v7
	v_cndmask_b32_e64 v8, 0, 1, vcc
	s_waitcnt lgkmcnt(0)
	v_add_f32_e32 v4, v4, v3
	v_add_lshl_u32 v3, v5, v6, 2
	ds_bpermute_b32 v5, v3, v4
	v_lshlrev_b32_e32 v8, 1, v8
	v_cmp_ne_u32_e32 vcc, 63, v7
	v_and_b32_e32 v7, 31, v0
	s_waitcnt lgkmcnt(0)
	v_add_f32_e32 v4, v4, v5
	v_add_lshl_u32 v5, v8, v6, 2
	ds_bpermute_b32 v8, v5, v4
	v_addc_co_u32_e32 v6, vcc, 0, v6, vcc
	v_lshlrev_b32_e32 v6, 2, v6
	v_cmp_eq_u32_e32 vcc, 0, v7
	s_waitcnt lgkmcnt(0)
	v_add_f32_e32 v4, v4, v8
	ds_bpermute_b32 v8, v6, v4
	s_and_saveexec_b64 s[2:3], vcc
	s_cbranch_execz .LBB19_6
; %bb.5:
	s_waitcnt lgkmcnt(0)
	v_add_f32_e32 v4, v4, v8
	v_lshrrev_b32_e32 v8, 3, v0
	ds_write_b32 v8, v4
.LBB19_6:
	s_or_b64 exec, exec, s[2:3]
	s_waitcnt lgkmcnt(0)
	s_barrier
	s_load_dword s2, s[4:5], 0x44
	v_mov_b32_e32 v4, 0
	s_waitcnt lgkmcnt(0)
	s_and_b32 s6, s2, 0xffff
	s_add_i32 s2, s6, 31
	s_lshr_b32 s2, s2, 5
	v_cmp_gt_u32_e32 vcc, s2, v0
	s_and_saveexec_b64 s[2:3], vcc
	s_cbranch_execnz .LBB19_16
; %bb.7:
	s_or_b64 exec, exec, s[2:3]
	v_cmp_gt_u32_e32 vcc, 32, v0
	s_and_saveexec_b64 s[2:3], vcc
	s_cbranch_execnz .LBB19_17
.LBB19_8:
	s_or_b64 exec, exec, s[2:3]
	v_cmp_eq_u32_e32 vcc, 0, v0
	s_and_saveexec_b64 s[2:3], vcc
	s_cbranch_execz .LBB19_10
.LBB19_9:
	v_cvt_f32_u32_e32 v1, s16
	s_waitcnt lgkmcnt(0)
	v_div_scale_f32 v2, s[4:5], v1, v1, v4
	v_rcp_f32_e32 v3, v2
	v_div_scale_f32 v5, vcc, v4, v1, v4
	s_mov_b32 s4, 0x800000
	v_fma_f32 v6, -v2, v3, 1.0
	v_fmac_f32_e32 v3, v6, v3
	v_mul_f32_e32 v6, v5, v3
	v_fma_f32 v7, -v2, v6, v5
	v_fmac_f32_e32 v6, v7, v3
	v_fma_f32 v2, -v2, v6, v5
	v_div_fmas_f32 v2, v2, v3, v6
	v_div_fixup_f32 v1, v2, v1, v4
	v_add_f32_e32 v1, 0x358637bd, v1
	v_mul_f32_e32 v2, 0x4b800000, v1
	v_cmp_gt_f32_e32 vcc, s4, v1
	v_cndmask_b32_e32 v1, v1, v2, vcc
	v_rsq_f32_e32 v1, v1
	v_mul_f32_e32 v2, 0x45800000, v1
	v_cndmask_b32_e32 v1, v1, v2, vcc
	v_mov_b32_e32 v2, 0
	ds_write_b32 v2, v1 offset:128
.LBB19_10:
	s_or_b64 exec, exec, s[2:3]
	s_waitcnt lgkmcnt(0)
	s_barrier
	s_and_saveexec_b64 s[2:3], s[0:1]
	s_cbranch_execz .LBB19_15
; %bb.11:
	v_cvt_f32_u32_e32 v1, s17
	v_mov_b32_e32 v3, 0
	s_cmp_eq_u32 s18, 0
	ds_read_b32 v6, v3 offset:128
	v_rcp_iflag_f32_e32 v2, v1
	s_cselect_b64 s[0:1], -1, 0
	s_sub_i32 s2, 0, s17
	v_cndmask_b32_e64 v4, 0, 1, s[0:1]
	v_mul_f32_e32 v2, 0x4f7ffffe, v2
	v_cvt_u32_f32_e32 v2, v2
	v_cmp_ne_u32_e64 s[0:1], 1, v4
	s_mov_b64 s[4:5], 0
	v_mov_b32_e32 v1, s9
	v_mul_lo_u32 v4, s2, v2
	v_mul_hi_u32 v4, v2, v4
	v_add_u32_e32 v7, v2, v4
	v_mov_b32_e32 v8, s13
	v_mov_b32_e32 v9, s11
	s_mov_b32 s7, 0xbfb8aa3b
	s_mov_b32 s9, 0x42ce8ed0
	;; [unrolled: 1-line block ×3, first 2 shown]
	v_mov_b32_e32 v10, 0x7f800000
	v_mov_b32_e32 v11, s15
	s_branch .LBB19_13
.LBB19_12:                              ;   in Loop: Header=BB19_13 Depth=1
	v_add_co_u32_e32 v14, vcc, s10, v4
	v_addc_co_u32_e32 v15, vcc, v9, v5, vcc
	global_load_dword v13, v[14:15], off
	v_lshlrev_b64 v[14:15], 2, v[2:3]
	v_add_co_u32_e32 v14, vcc, s12, v14
	v_addc_co_u32_e32 v15, vcc, v8, v15, vcc
	global_load_dword v2, v[14:15], off
	v_add_co_u32_e32 v4, vcc, s14, v4
	v_addc_co_u32_e32 v5, vcc, v11, v5, vcc
	s_waitcnt vmcnt(2) lgkmcnt(0)
	v_mul_f32_e32 v12, v6, v12
	v_add_u32_e32 v0, s6, v0
	v_cmp_le_u32_e64 s[2:3], s16, v0
	s_or_b64 s[4:5], s[2:3], s[4:5]
	s_waitcnt vmcnt(1)
	v_mul_f32_e32 v14, 0xbfb8aa3b, v13
	v_fma_f32 v15, v13, s7, -v14
	v_rndne_f32_e32 v16, v14
	v_fmac_f32_e32 v15, 0xb2a5705f, v13
	v_sub_f32_e32 v14, v14, v16
	v_add_f32_e32 v14, v14, v15
	v_cvt_i32_f32_e32 v16, v16
	v_exp_f32_e32 v14, v14
	v_cmp_nlt_f32_e32 vcc, s9, v13
	s_waitcnt vmcnt(0)
	v_mul_f32_e32 v2, v12, v2
	v_ldexp_f32 v14, v14, v16
	v_cndmask_b32_e32 v14, 0, v14, vcc
	v_cmp_ngt_f32_e32 vcc, s11, v13
	v_cndmask_b32_e32 v14, v10, v14, vcc
	v_add_f32_e32 v14, 1.0, v14
	v_div_scale_f32 v15, s[20:21], v14, v14, v13
	v_rcp_f32_e32 v16, v15
	v_div_scale_f32 v12, vcc, v13, v14, v13
	v_fma_f32 v17, -v15, v16, 1.0
	v_fmac_f32_e32 v16, v17, v16
	v_mul_f32_e32 v17, v12, v16
	v_fma_f32 v18, -v15, v17, v12
	v_fmac_f32_e32 v17, v18, v16
	v_fma_f32 v12, -v15, v17, v12
	v_div_fmas_f32 v12, v12, v16, v17
	v_div_fixup_f32 v12, v12, v14, v13
	v_mul_f32_e32 v2, v2, v12
	global_store_dword v[4:5], v2, off
	s_andn2_b64 exec, exec, s[4:5]
	s_cbranch_execz .LBB19_15
.LBB19_13:                              ; =>This Inner Loop Header: Depth=1
	v_add_u32_e32 v2, s19, v0
	v_lshlrev_b64 v[4:5], 2, v[2:3]
	v_add_co_u32_e32 v12, vcc, s8, v4
	v_addc_co_u32_e32 v13, vcc, v1, v5, vcc
	global_load_dword v12, v[12:13], off
	s_and_b64 vcc, exec, s[0:1]
	s_cbranch_vccnz .LBB19_12
; %bb.14:                               ;   in Loop: Header=BB19_13 Depth=1
	v_mul_hi_u32 v2, v7, v0
	v_mul_lo_u32 v13, s17, v2
	v_sub_u32_e32 v13, v0, v13
	v_not_b32_e32 v2, v2
	v_mad_u64_u32 v[14:15], s[2:3], s17, v2, v[0:1]
	v_cmp_le_u32_e32 vcc, s17, v13
	v_cndmask_b32_e32 v2, v13, v14, vcc
	v_subrev_u32_e32 v13, s17, v2
	v_cmp_le_u32_e32 vcc, s17, v2
	v_cndmask_b32_e32 v2, v2, v13, vcc
	s_branch .LBB19_12
.LBB19_15:
	s_endpgm
.LBB19_16:
	v_lshlrev_b32_e32 v4, 2, v7
	ds_read_b32 v4, v4
	s_or_b64 exec, exec, s[2:3]
	v_cmp_gt_u32_e32 vcc, 32, v0
	s_and_saveexec_b64 s[2:3], vcc
	s_cbranch_execz .LBB19_8
.LBB19_17:
	s_waitcnt lgkmcnt(0)
	ds_bpermute_b32 v1, v1, v4
	s_waitcnt lgkmcnt(0)
	v_add_f32_e32 v1, v4, v1
	ds_bpermute_b32 v2, v2, v1
	s_waitcnt lgkmcnt(0)
	v_add_f32_e32 v1, v1, v2
	;; [unrolled: 3-line block ×5, first 2 shown]
	s_or_b64 exec, exec, s[2:3]
	v_cmp_eq_u32_e32 vcc, 0, v0
	s_and_saveexec_b64 s[2:3], vcc
	s_cbranch_execnz .LBB19_9
	s_branch .LBB19_10
	.section	.rodata,"a",@progbits
	.p2align	6, 0x0
	.amdhsa_kernel ssm_gated_norm
		.amdhsa_group_segment_fixed_size 132
		.amdhsa_private_segment_fixed_size 0
		.amdhsa_kernarg_size 312
		.amdhsa_user_sgpr_count 6
		.amdhsa_user_sgpr_private_segment_buffer 1
		.amdhsa_user_sgpr_dispatch_ptr 0
		.amdhsa_user_sgpr_queue_ptr 0
		.amdhsa_user_sgpr_kernarg_segment_ptr 1
		.amdhsa_user_sgpr_dispatch_id 0
		.amdhsa_user_sgpr_flat_scratch_init 0
		.amdhsa_user_sgpr_kernarg_preload_length 0
		.amdhsa_user_sgpr_kernarg_preload_offset 0
		.amdhsa_user_sgpr_private_segment_size 0
		.amdhsa_uses_dynamic_stack 0
		.amdhsa_system_sgpr_private_segment_wavefront_offset 0
		.amdhsa_system_sgpr_workgroup_id_x 1
		.amdhsa_system_sgpr_workgroup_id_y 0
		.amdhsa_system_sgpr_workgroup_id_z 0
		.amdhsa_system_sgpr_workgroup_info 0
		.amdhsa_system_vgpr_workitem_id 0
		.amdhsa_next_free_vgpr 19
		.amdhsa_next_free_sgpr 22
		.amdhsa_accum_offset 20
		.amdhsa_reserve_vcc 1
		.amdhsa_reserve_flat_scratch 0
		.amdhsa_float_round_mode_32 0
		.amdhsa_float_round_mode_16_64 0
		.amdhsa_float_denorm_mode_32 3
		.amdhsa_float_denorm_mode_16_64 3
		.amdhsa_dx10_clamp 1
		.amdhsa_ieee_mode 1
		.amdhsa_fp16_overflow 0
		.amdhsa_tg_split 0
		.amdhsa_exception_fp_ieee_invalid_op 0
		.amdhsa_exception_fp_denorm_src 0
		.amdhsa_exception_fp_ieee_div_zero 0
		.amdhsa_exception_fp_ieee_overflow 0
		.amdhsa_exception_fp_ieee_underflow 0
		.amdhsa_exception_fp_ieee_inexact 0
		.amdhsa_exception_int_div_zero 0
	.end_amdhsa_kernel
	.text
.Lfunc_end19:
	.size	ssm_gated_norm, .Lfunc_end19-ssm_gated_norm
                                        ; -- End function
	.section	.AMDGPU.csdata,"",@progbits
; Kernel info:
; codeLenInByte = 1244
; NumSgprs: 26
; NumVgprs: 19
; NumAgprs: 0
; TotalNumVgprs: 19
; ScratchSize: 0
; MemoryBound: 0
; FloatMode: 240
; IeeeMode: 1
; LDSByteSize: 132 bytes/workgroup (compile time only)
; SGPRBlocks: 3
; VGPRBlocks: 2
; NumSGPRsForWavesPerEU: 26
; NumVGPRsForWavesPerEU: 19
; AccumOffset: 20
; Occupancy: 8
; WaveLimiterHint : 0
; COMPUTE_PGM_RSRC2:SCRATCH_EN: 0
; COMPUTE_PGM_RSRC2:USER_SGPR: 6
; COMPUTE_PGM_RSRC2:TRAP_HANDLER: 0
; COMPUTE_PGM_RSRC2:TGID_X_EN: 1
; COMPUTE_PGM_RSRC2:TGID_Y_EN: 0
; COMPUTE_PGM_RSRC2:TGID_Z_EN: 0
; COMPUTE_PGM_RSRC2:TIDIG_COMP_CNT: 0
; COMPUTE_PGM_RSRC3_GFX90A:ACCUM_OFFSET: 4
; COMPUTE_PGM_RSRC3_GFX90A:TG_SPLIT: 0
	.text
	.protected	kv_cache_write          ; -- Begin function kv_cache_write
	.globl	kv_cache_write
	.p2align	8
	.type	kv_cache_write,@function
kv_cache_write:                         ; @kv_cache_write
; %bb.0:
	s_load_dword s0, s[4:5], 0x34
	s_load_dword s1, s[4:5], 0x20
	s_waitcnt lgkmcnt(0)
	s_and_b32 s0, s0, 0xffff
	s_mul_i32 s6, s6, s0
	v_add_u32_e32 v0, s6, v0
	v_cmp_gt_u32_e32 vcc, s1, v0
	s_and_saveexec_b64 s[0:1], vcc
	s_cbranch_execz .LBB20_2
; %bb.1:
	s_load_dwordx8 s[8:15], s[4:5], 0x0
	v_mov_b32_e32 v3, 0
	v_mov_b32_e32 v1, v3
	v_lshlrev_b64 v[4:5], 2, v[0:1]
	s_load_dword s0, s[4:5], 0x24
	s_waitcnt lgkmcnt(0)
	v_mov_b32_e32 v1, s9
	v_add_co_u32_e32 v6, vcc, s8, v4
	v_addc_co_u32_e32 v7, vcc, v1, v5, vcc
	global_load_dword v6, v[6:7], off
	v_add_u32_e32 v2, s0, v0
	v_lshlrev_b64 v[0:1], 2, v[2:3]
	v_mov_b32_e32 v3, s13
	v_add_co_u32_e32 v2, vcc, s12, v4
	v_addc_co_u32_e32 v3, vcc, v3, v5, vcc
	v_mov_b32_e32 v5, s11
	v_add_co_u32_e32 v4, vcc, s10, v0
	v_addc_co_u32_e32 v5, vcc, v5, v1, vcc
	v_add_co_u32_e32 v0, vcc, s14, v0
	s_waitcnt vmcnt(0)
	global_store_dword v[4:5], v6, off
	global_load_dword v2, v[2:3], off
	v_mov_b32_e32 v3, s15
	v_addc_co_u32_e32 v1, vcc, v3, v1, vcc
	s_waitcnt vmcnt(0)
	global_store_dword v[0:1], v2, off
.LBB20_2:
	s_endpgm
	.section	.rodata,"a",@progbits
	.p2align	6, 0x0
	.amdhsa_kernel kv_cache_write
		.amdhsa_group_segment_fixed_size 0
		.amdhsa_private_segment_fixed_size 0
		.amdhsa_kernarg_size 296
		.amdhsa_user_sgpr_count 6
		.amdhsa_user_sgpr_private_segment_buffer 1
		.amdhsa_user_sgpr_dispatch_ptr 0
		.amdhsa_user_sgpr_queue_ptr 0
		.amdhsa_user_sgpr_kernarg_segment_ptr 1
		.amdhsa_user_sgpr_dispatch_id 0
		.amdhsa_user_sgpr_flat_scratch_init 0
		.amdhsa_user_sgpr_kernarg_preload_length 0
		.amdhsa_user_sgpr_kernarg_preload_offset 0
		.amdhsa_user_sgpr_private_segment_size 0
		.amdhsa_uses_dynamic_stack 0
		.amdhsa_system_sgpr_private_segment_wavefront_offset 0
		.amdhsa_system_sgpr_workgroup_id_x 1
		.amdhsa_system_sgpr_workgroup_id_y 0
		.amdhsa_system_sgpr_workgroup_id_z 0
		.amdhsa_system_sgpr_workgroup_info 0
		.amdhsa_system_vgpr_workitem_id 0
		.amdhsa_next_free_vgpr 8
		.amdhsa_next_free_sgpr 16
		.amdhsa_accum_offset 8
		.amdhsa_reserve_vcc 1
		.amdhsa_reserve_flat_scratch 0
		.amdhsa_float_round_mode_32 0
		.amdhsa_float_round_mode_16_64 0
		.amdhsa_float_denorm_mode_32 3
		.amdhsa_float_denorm_mode_16_64 3
		.amdhsa_dx10_clamp 1
		.amdhsa_ieee_mode 1
		.amdhsa_fp16_overflow 0
		.amdhsa_tg_split 0
		.amdhsa_exception_fp_ieee_invalid_op 0
		.amdhsa_exception_fp_denorm_src 0
		.amdhsa_exception_fp_ieee_div_zero 0
		.amdhsa_exception_fp_ieee_overflow 0
		.amdhsa_exception_fp_ieee_underflow 0
		.amdhsa_exception_fp_ieee_inexact 0
		.amdhsa_exception_int_div_zero 0
	.end_amdhsa_kernel
	.text
.Lfunc_end20:
	.size	kv_cache_write, .Lfunc_end20-kv_cache_write
                                        ; -- End function
	.section	.AMDGPU.csdata,"",@progbits
; Kernel info:
; codeLenInByte = 188
; NumSgprs: 20
; NumVgprs: 8
; NumAgprs: 0
; TotalNumVgprs: 8
; ScratchSize: 0
; MemoryBound: 0
; FloatMode: 240
; IeeeMode: 1
; LDSByteSize: 0 bytes/workgroup (compile time only)
; SGPRBlocks: 2
; VGPRBlocks: 0
; NumSGPRsForWavesPerEU: 20
; NumVGPRsForWavesPerEU: 8
; AccumOffset: 8
; Occupancy: 8
; WaveLimiterHint : 0
; COMPUTE_PGM_RSRC2:SCRATCH_EN: 0
; COMPUTE_PGM_RSRC2:USER_SGPR: 6
; COMPUTE_PGM_RSRC2:TRAP_HANDLER: 0
; COMPUTE_PGM_RSRC2:TGID_X_EN: 1
; COMPUTE_PGM_RSRC2:TGID_Y_EN: 0
; COMPUTE_PGM_RSRC2:TGID_Z_EN: 0
; COMPUTE_PGM_RSRC2:TIDIG_COMP_CNT: 0
; COMPUTE_PGM_RSRC3_GFX90A:ACCUM_OFFSET: 1
; COMPUTE_PGM_RSRC3_GFX90A:TG_SPLIT: 0
	.text
	.protected	naive_attention         ; -- Begin function naive_attention
	.globl	naive_attention
	.p2align	8
	.type	naive_attention,@function
naive_attention:                        ; @naive_attention
; %bb.0:
	s_load_dwordx4 s[16:19], s[4:5], 0x28
	s_load_dwordx2 s[26:27], s[4:5], 0x38
	s_waitcnt lgkmcnt(0)
	v_cvt_f32_u32_e32 v1, s18
	s_sub_i32 s0, 0, s18
	v_rcp_iflag_f32_e32 v1, v1
	v_mul_f32_e32 v1, 0x4f7ffffe, v1
	v_cvt_u32_f32_e32 v1, v1
	v_readfirstlane_b32 s1, v1
	s_mul_i32 s0, s0, s1
	s_mul_hi_u32 s0, s1, s0
	s_add_i32 s1, s1, s0
	s_mul_hi_u32 s0, s17, s1
	s_mul_i32 s1, s0, s18
	s_sub_i32 s1, s17, s1
	s_add_i32 s2, s0, 1
	s_sub_i32 s3, s1, s18
	s_cmp_ge_u32 s1, s18
	s_cselect_b32 s0, s2, s0
	s_cselect_b32 s1, s3, s1
	s_add_i32 s2, s0, 1
	s_cmp_ge_u32 s1, s18
	s_cselect_b32 s2, s2, s0
	v_cvt_f32_u32_e32 v1, s2
	s_sub_i32 s0, 0, s2
	v_rcp_iflag_f32_e32 v1, v1
	v_mul_f32_e32 v1, 0x4f7ffffe, v1
	v_cvt_u32_f32_e32 v1, v1
	v_readfirstlane_b32 s1, v1
	s_mul_i32 s0, s0, s1
	s_mul_hi_u32 s0, s1, s0
	s_add_i32 s1, s1, s0
	s_cmp_eq_u32 s26, 0
	s_mul_hi_u32 s3, s6, s1
	s_cbranch_scc1 .LBB21_45
; %bb.1:
	v_mov_b32_e32 v1, s26
	s_cbranch_execnz .LBB21_3
.LBB21_2:
	v_cvt_f32_u32_e32 v1, s16
	s_cmp_eq_u32 s16, 0
	s_cselect_b64 vcc, -1, 0
	v_rsq_f32_e32 v1, v1
	v_mul_f32_e32 v2, 0x45800000, v1
	v_cndmask_b32_e32 v1, v1, v2, vcc
.LBB21_3:
	s_mul_i32 s0, s3, s2
	s_sub_i32 s0, s6, s0
	s_add_i32 s1, s3, 1
	s_sub_i32 s7, s0, s2
	s_load_dwordx8 s[8:15], s[4:5], 0x0
	s_load_dwordx2 s[22:23], s[4:5], 0x20
	s_cmp_ge_u32 s0, s2
	s_cselect_b32 s1, s1, s3
	s_cselect_b32 s0, s7, s0
	s_add_i32 s3, s1, 1
	s_cmp_ge_u32 s0, s2
	s_cselect_b32 s20, s3, s1
	s_mov_b32 s17, 0
	s_mul_hi_u32 s25, s16, s6
	s_mul_i32 s24, s16, s6
	v_cmp_gt_u32_e64 s[0:1], s19, v0
	v_mov_b32_e32 v4, 0xff7fc99e
	s_and_saveexec_b64 s[28:29], s[0:1]
	s_cbranch_execz .LBB21_11
; %bb.4:
	s_lshl_b64 s[2:3], s[24:25], 2
	s_waitcnt lgkmcnt(0)
	s_add_u32 s8, s8, s2
	s_load_dword s7, s[4:5], 0x4c
	s_addc_u32 s9, s9, s3
	s_cmp_lg_u32 s16, 0
	s_cselect_b64 s[2:3], -1, 0
	v_cndmask_b32_e64 v2, 0, 1, s[2:3]
	s_mov_b32 s21, s17
	s_waitcnt lgkmcnt(0)
	s_and_b32 s7, s7, 0xffff
	s_lshl_b64 s[34:35], s[16:17], 2
	s_mov_b64 s[30:31], 0
	v_mov_b32_e32 v4, 0xff7fc99e
	v_mov_b32_e32 v5, 0x10c
	v_cmp_ne_u32_e64 s[2:3], 1, v2
	v_mov_b32_e32 v6, v0
	s_branch .LBB21_7
.LBB21_5:                               ;   in Loop: Header=BB21_7 Depth=1
	v_mov_b32_e32 v7, 0
.LBB21_6:                               ;   in Loop: Header=BB21_7 Depth=1
	v_mul_f32_e32 v2, v1, v7
	v_lshl_add_u32 v3, v6, 2, v5
	v_add_u32_e32 v6, s7, v6
	ds_write_b32 v3, v2
	v_max_f32_e32 v3, v4, v4
	v_cmp_le_u32_e32 vcc, s19, v6
	s_or_b64 s[30:31], vcc, s[30:31]
	v_max_f32_e32 v4, v3, v2
	s_andn2_b64 exec, exec, s[30:31]
	s_cbranch_execz .LBB21_10
.LBB21_7:                               ; =>This Loop Header: Depth=1
                                        ;     Child Loop BB21_9 Depth 2
	s_and_b64 vcc, exec, s[2:3]
	s_cbranch_vccnz .LBB21_5
; %bb.8:                                ;   in Loop: Header=BB21_7 Depth=1
	v_pk_mov_b32 v[2:3], s[20:21], s[20:21] op_sel:[0,1]
	v_mad_u64_u32 v[2:3], s[36:37], s18, v6, v[2:3]
	v_pk_mov_b32 v[8:9], s[10:11], s[10:11] op_sel:[0,1]
	v_mul_lo_u32 v7, s34, v3
	v_mul_lo_u32 v10, s35, v2
	v_mad_u64_u32 v[2:3], s[36:37], s34, v2, v[8:9]
	v_add3_u32 v3, v10, v3, v7
	v_mov_b32_e32 v7, 0
	s_mov_b64 s[36:37], s[8:9]
	s_mov_b32 s26, s16
.LBB21_9:                               ;   Parent Loop BB21_7 Depth=1
                                        ; =>  This Inner Loop Header: Depth=2
	global_load_dword v8, v[2:3], off
	s_load_dword s33, s[36:37], 0x0
	s_add_i32 s26, s26, -1
	s_add_u32 s36, s36, 4
	v_add_co_u32_e32 v2, vcc, 4, v2
	s_addc_u32 s37, s37, 0
	v_addc_co_u32_e32 v3, vcc, 0, v3, vcc
	s_cmp_eq_u32 s26, 0
	s_waitcnt vmcnt(0) lgkmcnt(0)
	v_fmac_f32_e32 v7, s33, v8
	s_cbranch_scc0 .LBB21_9
	s_branch .LBB21_6
.LBB21_10:
	s_or_b64 exec, exec, s[30:31]
.LBB21_11:
	s_or_b64 exec, exec, s[28:29]
	v_mbcnt_lo_u32_b32 v1, -1, 0
	v_mbcnt_hi_u32_b32 v5, -1, v1
	v_and_b32_e32 v6, 63, v5
	v_cmp_gt_u32_e32 vcc, 48, v6
	v_cndmask_b32_e64 v1, 0, 1, vcc
	v_lshlrev_b32_e32 v1, 4, v1
	v_add_lshl_u32 v1, v1, v5, 2
	ds_bpermute_b32 v2, v1, v4
	v_cmp_gt_u32_e32 vcc, 56, v6
	v_max_f32_e32 v3, v4, v4
	v_cndmask_b32_e64 v4, 0, 1, vcc
	v_cmp_gt_u32_e32 vcc, 60, v6
	s_waitcnt lgkmcnt(0)
	v_max_f32_e32 v2, v2, v2
	v_max_f32_e32 v3, v3, v2
	v_lshlrev_b32_e32 v2, 3, v4
	v_add_lshl_u32 v2, v2, v5, 2
	ds_bpermute_b32 v4, v2, v3
	v_cndmask_b32_e64 v7, 0, 1, vcc
	v_cmp_gt_u32_e32 vcc, 62, v6
	v_cndmask_b32_e64 v8, 0, 1, vcc
	v_cmp_ne_u32_e32 vcc, 63, v6
	s_waitcnt lgkmcnt(0)
	v_max_f32_e32 v4, v4, v4
	v_max_f32_e32 v4, v3, v4
	v_lshlrev_b32_e32 v3, 2, v7
	v_add_lshl_u32 v3, v3, v5, 2
	ds_bpermute_b32 v7, v3, v4
	v_and_b32_e32 v6, 31, v0
	s_waitcnt lgkmcnt(0)
	v_max_f32_e32 v7, v7, v7
	v_max_f32_e32 v7, v4, v7
	v_lshlrev_b32_e32 v4, 1, v8
	v_add_lshl_u32 v4, v4, v5, 2
	ds_bpermute_b32 v8, v4, v7
	v_addc_co_u32_e32 v5, vcc, 0, v5, vcc
	v_lshlrev_b32_e32 v5, 2, v5
	v_cmp_eq_u32_e32 vcc, 0, v6
	s_waitcnt lgkmcnt(0)
	v_max_f32_e32 v8, v8, v8
	v_max_f32_e32 v7, v7, v8
	ds_bpermute_b32 v8, v5, v7
	s_and_saveexec_b64 s[2:3], vcc
	s_cbranch_execz .LBB21_13
; %bb.12:
	s_waitcnt lgkmcnt(0)
	v_max_f32_e32 v8, v8, v8
	v_max_f32_e32 v7, v7, v7
	;; [unrolled: 1-line block ×3, first 2 shown]
	v_lshrrev_b32_e32 v8, 3, v0
	ds_write_b32 v8, v7
.LBB21_13:
	s_or_b64 exec, exec, s[2:3]
	s_waitcnt lgkmcnt(0)
	s_barrier
	s_load_dword s2, s[4:5], 0x4c
	v_mov_b32_e32 v7, 0xff7fc99e
	s_waitcnt lgkmcnt(0)
	s_and_b32 s21, s2, 0xffff
	s_add_i32 s2, s21, 31
	s_lshr_b32 s2, s2, 5
	v_cmp_gt_u32_e64 s[2:3], s2, v0
	s_and_saveexec_b64 s[4:5], s[2:3]
	s_cbranch_execnz .LBB21_26
; %bb.14:
	s_or_b64 exec, exec, s[4:5]
	v_cmp_gt_u32_e64 s[4:5], 32, v0
	s_and_saveexec_b64 s[8:9], s[4:5]
	s_cbranch_execnz .LBB21_27
.LBB21_15:
	s_or_b64 exec, exec, s[8:9]
	v_cmp_eq_u32_e64 s[8:9], 0, v0
	s_and_saveexec_b64 s[10:11], s[8:9]
	s_cbranch_execz .LBB21_17
.LBB21_16:
	v_mov_b32_e32 v8, 0
	s_waitcnt lgkmcnt(0)
	ds_write_b32 v8, v7 offset:256
.LBB21_17:
	s_or_b64 exec, exec, s[10:11]
	v_mov_b32_e32 v8, 0
	s_waitcnt lgkmcnt(0)
	s_barrier
	ds_read_b32 v7, v8 offset:256
	s_and_saveexec_b64 s[10:11], s[0:1]
	s_cbranch_execz .LBB21_21
; %bb.18:
	v_mov_b32_e32 v8, 0x10c
	v_lshl_add_u32 v9, v0, 2, v8
	s_lshl_b32 s7, s21, 2
	s_mov_b64 s[28:29], 0
	v_mov_b32_e32 v8, 0
	s_mov_b32 s26, 0x3fb8aa3b
	s_mov_b32 s30, 0xc2ce8ed0
	;; [unrolled: 1-line block ×3, first 2 shown]
	v_mov_b32_e32 v10, 0x7f800000
	v_mov_b32_e32 v11, v0
.LBB21_19:                              ; =>This Inner Loop Header: Depth=1
	ds_read_b32 v12, v9
	v_add_u32_e32 v11, s21, v11
	s_waitcnt lgkmcnt(0)
	v_sub_f32_e32 v12, v12, v7
	v_mul_f32_e32 v13, 0x3fb8aa3b, v12
	v_fma_f32 v14, v12, s26, -v13
	v_rndne_f32_e32 v15, v13
	v_fmac_f32_e32 v14, 0x32a5705f, v12
	v_sub_f32_e32 v13, v13, v15
	v_add_f32_e32 v13, v13, v14
	v_cvt_i32_f32_e32 v15, v15
	v_exp_f32_e32 v13, v13
	v_cmp_ngt_f32_e64 s[0:1], s30, v12
	v_ldexp_f32 v13, v13, v15
	v_cndmask_b32_e64 v13, 0, v13, s[0:1]
	v_cmp_nlt_f32_e64 s[0:1], s31, v12
	v_cndmask_b32_e64 v12, v10, v13, s[0:1]
	v_cmp_le_u32_e64 s[0:1], s19, v11
	ds_write_b32 v9, v12
	v_add_f32_e32 v8, v8, v12
	s_or_b64 s[28:29], s[0:1], s[28:29]
	v_add_u32_e32 v9, s7, v9
	s_andn2_b64 exec, exec, s[28:29]
	s_cbranch_execnz .LBB21_19
; %bb.20:
	s_or_b64 exec, exec, s[28:29]
.LBB21_21:
	s_or_b64 exec, exec, s[10:11]
	ds_bpermute_b32 v9, v1, v8
	s_waitcnt lgkmcnt(0)
	v_add_f32_e32 v8, v8, v9
	ds_bpermute_b32 v9, v2, v8
	s_waitcnt lgkmcnt(0)
	v_add_f32_e32 v8, v8, v9
	;; [unrolled: 3-line block ×4, first 2 shown]
	ds_bpermute_b32 v9, v5, v8
	s_and_saveexec_b64 s[0:1], vcc
	s_cbranch_execz .LBB21_23
; %bb.22:
	s_waitcnt lgkmcnt(0)
	v_add_f32_e32 v8, v8, v9
	v_lshrrev_b32_e32 v9, 3, v0
	ds_write_b32 v9, v8 offset:128
.LBB21_23:
	s_or_b64 exec, exec, s[0:1]
	v_mov_b32_e32 v8, 0
	s_waitcnt lgkmcnt(0)
	s_barrier
	s_and_saveexec_b64 s[0:1], s[2:3]
	s_cbranch_execnz .LBB21_28
; %bb.24:
	s_or_b64 exec, exec, s[0:1]
	s_and_saveexec_b64 s[0:1], s[4:5]
	s_cbranch_execnz .LBB21_29
.LBB21_25:
	s_or_b64 exec, exec, s[0:1]
	s_and_saveexec_b64 s[0:1], s[8:9]
	s_cbranch_execnz .LBB21_30
	s_branch .LBB21_33
.LBB21_26:
	v_lshlrev_b32_e32 v7, 2, v6
	ds_read_b32 v7, v7
	s_or_b64 exec, exec, s[4:5]
	v_cmp_gt_u32_e64 s[4:5], 32, v0
	s_and_saveexec_b64 s[8:9], s[4:5]
	s_cbranch_execz .LBB21_15
.LBB21_27:
	s_waitcnt lgkmcnt(0)
	ds_bpermute_b32 v8, v1, v7
	v_max_f32_e32 v7, v7, v7
	s_waitcnt lgkmcnt(0)
	v_max_f32_e32 v8, v8, v8
	v_max_f32_e32 v7, v7, v8
	ds_bpermute_b32 v8, v2, v7
	s_waitcnt lgkmcnt(0)
	v_max_f32_e32 v8, v8, v8
	v_max_f32_e32 v7, v7, v8
	ds_bpermute_b32 v8, v3, v7
	;; [unrolled: 4-line block ×4, first 2 shown]
	s_waitcnt lgkmcnt(0)
	v_max_f32_e32 v8, v8, v8
	v_max_f32_e32 v7, v7, v8
	s_or_b64 exec, exec, s[8:9]
	v_cmp_eq_u32_e64 s[8:9], 0, v0
	s_and_saveexec_b64 s[10:11], s[8:9]
	s_cbranch_execnz .LBB21_16
	s_branch .LBB21_17
.LBB21_28:
	v_lshlrev_b32_e32 v6, 2, v6
	ds_read_b32 v8, v6 offset:128
	s_or_b64 exec, exec, s[0:1]
	s_and_saveexec_b64 s[0:1], s[4:5]
	s_cbranch_execz .LBB21_25
.LBB21_29:
	s_waitcnt lgkmcnt(0)
	ds_bpermute_b32 v1, v1, v8
	s_waitcnt lgkmcnt(0)
	v_add_f32_e32 v1, v8, v1
	ds_bpermute_b32 v2, v2, v1
	s_waitcnt lgkmcnt(0)
	v_add_f32_e32 v1, v1, v2
	;; [unrolled: 3-line block ×5, first 2 shown]
	s_or_b64 exec, exec, s[0:1]
	s_and_saveexec_b64 s[0:1], s[8:9]
	s_cbranch_execz .LBB21_33
.LBB21_30:
	s_add_i32 s2, s27, s6
	s_mov_b32 s3, 0
	s_lshl_b64 s[2:3], s[2:3], 2
	s_add_u32 s2, s14, s2
	s_addc_u32 s3, s15, s3
	s_load_dword s2, s[2:3], 0x0
	s_waitcnt lgkmcnt(0)
	v_cmp_u_f32_e64 s[4:5], s2, s2
	s_and_b64 vcc, exec, s[4:5]
	s_cbranch_vccnz .LBB21_46
; %bb.31:
	v_max_f32_e64 v1, s2, s2
	v_max_f32_e32 v2, v7, v7
	v_max_f32_e32 v1, v2, v1
	v_sub_f32_e32 v2, v7, v1
	s_mov_b32 s3, 0x3fb8aa3b
	v_mul_f32_e32 v3, 0x3fb8aa3b, v2
	v_fma_f32 v4, v2, s3, -v3
	v_rndne_f32_e32 v5, v3
	v_fmac_f32_e32 v4, 0x32a5705f, v2
	v_sub_f32_e32 v3, v3, v5
	v_add_f32_e32 v3, v3, v4
	v_cvt_i32_f32_e32 v4, v5
	v_sub_f32_e32 v5, s2, v1
	v_mul_f32_e32 v1, 0x3fb8aa3b, v5
	v_exp_f32_e32 v3, v3
	v_fma_f32 v6, v5, s3, -v1
	v_rndne_f32_e32 v7, v1
	v_fmac_f32_e32 v6, 0x32a5705f, v5
	v_sub_f32_e32 v1, v1, v7
	v_add_f32_e32 v1, v1, v6
	s_mov_b32 s4, 0xc2ce8ed0
	v_exp_f32_e32 v6, v1
	v_cvt_i32_f32_e32 v7, v7
	v_ldexp_f32 v3, v3, v4
	v_cmp_ngt_f32_e32 vcc, s4, v2
	s_mov_b32 s5, 0x42b17218
	v_cndmask_b32_e32 v3, 0, v3, vcc
	v_mov_b32_e32 v4, 0x7f800000
	v_cmp_nlt_f32_e32 vcc, s5, v2
	v_cndmask_b32_e32 v1, v4, v3, vcc
	v_cmp_lt_f32_e32 vcc, 0, v8
	v_cndmask_b32_e32 v1, 0, v1, vcc
	v_ldexp_f32 v2, v6, v7
	v_cmp_ngt_f32_e32 vcc, s4, v5
	v_cndmask_b32_e32 v2, 0, v2, vcc
	v_cmp_nlt_f32_e32 vcc, s5, v5
	v_cndmask_b32_e32 v2, v4, v2, vcc
	v_fmac_f32_e32 v2, v8, v1
	v_mov_b32_e32 v8, v2
.LBB21_32:
	v_div_scale_f32 v2, s[2:3], v8, v8, 1.0
	v_rcp_f32_e32 v3, v2
	v_div_scale_f32 v4, vcc, 1.0, v8, 1.0
	v_fma_f32 v5, -v2, v3, 1.0
	v_fmac_f32_e32 v3, v5, v3
	v_mul_f32_e32 v5, v4, v3
	v_fma_f32 v6, -v2, v5, v4
	v_fmac_f32_e32 v5, v6, v3
	v_fma_f32 v2, -v2, v5, v4
	v_div_fmas_f32 v2, v2, v3, v5
	v_div_fixup_f32 v2, v2, v8, 1.0
	v_cmp_lt_f32_e32 vcc, 0, v8
	v_cndmask_b32_e32 v2, 0, v2, vcc
	v_mov_b32_e32 v3, 0
	ds_write2_b32 v3, v2, v1 offset0:65 offset1:66
.LBB21_33:
	s_or_b64 exec, exec, s[0:1]
	v_cmp_gt_u32_e32 vcc, s16, v0
	s_waitcnt lgkmcnt(0)
	s_barrier
	s_and_saveexec_b64 s[0:1], vcc
	s_cbranch_execz .LBB21_44
; %bb.34:
	s_cmp_lg_u32 s19, 0
	s_cselect_b64 s[0:1], -1, 0
	s_lshl_b64 s[2:3], s[24:25], 2
	s_add_u32 s30, s22, s2
	s_addc_u32 s34, s23, s3
	s_and_b32 s31, s19, 3
	s_cmp_gt_u32 s19, 3
	s_cselect_b64 s[2:3], -1, 0
	s_and_b32 s33, s19, -4
	s_cmp_lg_u32 s31, 0
	s_mul_i32 s9, s18, 3
	s_cselect_b64 s[6:7], -1, 0
	s_mul_hi_u32 s8, s18, 3
	s_add_u32 s10, s9, s20
	s_addc_u32 s8, s8, 0
	s_mul_i32 s8, s8, s16
	s_mul_hi_u32 s9, s10, s16
	s_mov_b32 s5, 0
	s_mov_b32 s4, s18
	s_add_i32 s9, s9, s8
	s_mul_i32 s8, s10, s16
	s_mul_hi_u32 s27, s18, s16
	s_mul_i32 s26, s18, s16
	s_lshl_b64 s[8:9], s[8:9], 2
	s_lshl_b64 s[10:11], s[26:27], 4
	;; [unrolled: 1-line block ×3, first 2 shown]
	s_add_u32 s5, s14, s20
	s_addc_u32 s14, s15, 0
	s_mul_i32 s14, s14, s16
	s_mul_hi_u32 s15, s5, s16
	s_add_i32 s15, s15, s14
	s_mul_i32 s14, s5, s16
	s_lshl_b64 s[14:15], s[14:15], 2
	v_mov_b32_e32 v1, 0
	s_add_u32 s5, s20, s18
	ds_read2_b32 v[2:3], v1 offset0:65 offset1:66
	s_addc_u32 s18, 0, 0
	s_mul_i32 s18, s18, s16
	s_mul_hi_u32 s19, s5, s16
	s_add_i32 s19, s19, s18
	s_mul_i32 s18, s5, s16
	s_mul_hi_u32 s23, s20, s16
	s_mul_i32 s22, s20, s16
	s_lshl_b64 s[18:19], s[18:19], 2
	s_lshl_b64 s[22:23], s[22:23], 2
	;; [unrolled: 1-line block ×3, first 2 shown]
	v_cndmask_b32_e64 v4, 0, 1, s[0:1]
	v_cndmask_b32_e64 v5, 0, 1, s[2:3]
	s_lshl_b64 s[24:25], s[16:17], 2
	s_mov_b64 s[28:29], 0
	v_mov_b32_e32 v8, s23
	v_mov_b32_e32 v9, s19
	;; [unrolled: 1-line block ×7, first 2 shown]
	v_cmp_ne_u32_e64 s[0:1], 1, v4
	v_cmp_ne_u32_e64 s[2:3], 1, v5
	s_branch .LBB21_36
.LBB21_35:                              ;   in Loop: Header=BB21_36 Depth=1
	v_add_co_u32_e32 v4, vcc, s30, v4
	v_addc_co_u32_e32 v5, vcc, v14, v5, vcc
	v_add_u32_e32 v0, s21, v0
	s_waitcnt lgkmcnt(0)
	v_mul_f32_e32 v6, v3, v15
	v_cmp_le_u32_e32 vcc, s16, v0
	v_mul_f32_e32 v6, v2, v6
	s_or_b64 s[28:29], vcc, s[28:29]
	global_store_dword v[4:5], v6, off
	s_andn2_b64 exec, exec, s[28:29]
	s_cbranch_execz .LBB21_44
.LBB21_36:                              ; =>This Loop Header: Depth=1
                                        ;     Child Loop BB21_39 Depth 2
                                        ;     Child Loop BB21_43 Depth 2
	s_and_b64 vcc, exec, s[0:1]
	v_lshlrev_b64 v[4:5], 2, v[0:1]
	v_mov_b32_e32 v15, v1
	s_cbranch_vccnz .LBB21_35
; %bb.37:                               ;   in Loop: Header=BB21_36 Depth=1
	s_and_b64 vcc, exec, s[2:3]
	s_cbranch_vccnz .LBB21_41
; %bb.38:                               ;   in Loop: Header=BB21_36 Depth=1
	v_mov_b32_e32 v7, s13
	v_add_co_u32_e32 v6, vcc, s12, v4
	v_addc_co_u32_e32 v7, vcc, v7, v5, vcc
	s_mov_b32 s5, 0
	s_movk_i32 s9, 0x10c
	v_mov_b32_e32 v15, 0
.LBB21_39:                              ;   Parent Loop BB21_36 Depth=1
                                        ; =>  This Inner Loop Header: Depth=2
	v_add_co_u32_e32 v16, vcc, s22, v6
	v_addc_co_u32_e32 v17, vcc, v7, v8, vcc
	v_add_co_u32_e32 v18, vcc, s18, v6
	v_addc_co_u32_e32 v19, vcc, v7, v9, vcc
	;; [unrolled: 2-line block ×4, first 2 shown]
	global_load_dword v24, v[16:17], off
	global_load_dword v25, v[18:19], off
	;; [unrolled: 1-line block ×4, first 2 shown]
	v_mov_b32_e32 v18, s9
	ds_read2_b32 v[16:17], v18 offset1:1
	ds_read2_b32 v[18:19], v18 offset0:2 offset1:3
	s_add_i32 s5, s5, 4
	v_add_co_u32_e32 v6, vcc, s10, v6
	s_add_i32 s9, s9, 16
	v_addc_co_u32_e32 v7, vcc, v7, v12, vcc
	s_cmp_eq_u32 s33, s5
	s_waitcnt vmcnt(3) lgkmcnt(1)
	v_fmac_f32_e32 v15, v16, v24
	s_waitcnt vmcnt(2)
	v_fmac_f32_e32 v15, v17, v25
	s_waitcnt vmcnt(1) lgkmcnt(0)
	v_fmac_f32_e32 v15, v18, v26
	s_waitcnt vmcnt(0)
	v_fmac_f32_e32 v15, v19, v27
	s_cbranch_scc0 .LBB21_39
; %bb.40:                               ;   in Loop: Header=BB21_36 Depth=1
	s_mov_b32 s9, s33
	s_andn2_b64 vcc, exec, s[6:7]
	s_cbranch_vccz .LBB21_42
	s_branch .LBB21_35
.LBB21_41:                              ;   in Loop: Header=BB21_36 Depth=1
	s_mov_b32 s9, 0
	v_mov_b32_e32 v15, 0
	s_andn2_b64 vcc, exec, s[6:7]
	s_cbranch_vccnz .LBB21_35
.LBB21_42:                              ;   in Loop: Header=BB21_36 Depth=1
	s_lshl_b32 s5, s9, 2
	s_addk_i32 s5, 0x10c
	s_mul_hi_u32 s11, s4, s9
	s_mul_i32 s9, s4, s9
	s_add_u32 s9, s20, s9
	s_addc_u32 s11, 0, s11
	s_mul_i32 s11, s24, s11
	s_mul_hi_u32 s15, s24, s9
	s_add_i32 s11, s15, s11
	s_mul_i32 s15, s25, s9
	s_add_i32 s11, s11, s15
	s_mul_i32 s9, s24, s9
	s_add_u32 s9, s12, s9
	s_addc_u32 s11, s13, s11
	v_mov_b32_e32 v7, s11
	v_add_co_u32_e32 v6, vcc, s9, v4
	v_addc_co_u32_e32 v7, vcc, v7, v5, vcc
	s_mov_b32 s9, s31
.LBB21_43:                              ;   Parent Loop BB21_36 Depth=1
                                        ; =>  This Inner Loop Header: Depth=2
	global_load_dword v16, v[6:7], off
	v_mov_b32_e32 v17, s5
	ds_read_b32 v17, v17
	s_add_i32 s5, s5, 4
	v_add_co_u32_e32 v6, vcc, s26, v6
	s_add_i32 s9, s9, -1
	v_addc_co_u32_e32 v7, vcc, v7, v13, vcc
	s_cmp_lg_u32 s9, 0
	s_waitcnt vmcnt(0) lgkmcnt(0)
	v_fmac_f32_e32 v15, v17, v16
	s_cbranch_scc1 .LBB21_43
	s_branch .LBB21_35
.LBB21_44:
	s_endpgm
.LBB21_45:
	v_mov_b32_e32 v1, s26
	s_branch .LBB21_2
.LBB21_46:
	v_mov_b32_e32 v1, 1.0
	s_branch .LBB21_32
	.section	.rodata,"a",@progbits
	.p2align	6, 0x0
	.amdhsa_kernel naive_attention
		.amdhsa_group_segment_fixed_size 268
		.amdhsa_private_segment_fixed_size 0
		.amdhsa_kernarg_size 320
		.amdhsa_user_sgpr_count 6
		.amdhsa_user_sgpr_private_segment_buffer 1
		.amdhsa_user_sgpr_dispatch_ptr 0
		.amdhsa_user_sgpr_queue_ptr 0
		.amdhsa_user_sgpr_kernarg_segment_ptr 1
		.amdhsa_user_sgpr_dispatch_id 0
		.amdhsa_user_sgpr_flat_scratch_init 0
		.amdhsa_user_sgpr_kernarg_preload_length 0
		.amdhsa_user_sgpr_kernarg_preload_offset 0
		.amdhsa_user_sgpr_private_segment_size 0
		.amdhsa_uses_dynamic_stack 0
		.amdhsa_system_sgpr_private_segment_wavefront_offset 0
		.amdhsa_system_sgpr_workgroup_id_x 1
		.amdhsa_system_sgpr_workgroup_id_y 0
		.amdhsa_system_sgpr_workgroup_id_z 0
		.amdhsa_system_sgpr_workgroup_info 0
		.amdhsa_system_vgpr_workitem_id 0
		.amdhsa_next_free_vgpr 28
		.amdhsa_next_free_sgpr 38
		.amdhsa_accum_offset 28
		.amdhsa_reserve_vcc 1
		.amdhsa_reserve_flat_scratch 0
		.amdhsa_float_round_mode_32 0
		.amdhsa_float_round_mode_16_64 0
		.amdhsa_float_denorm_mode_32 3
		.amdhsa_float_denorm_mode_16_64 3
		.amdhsa_dx10_clamp 1
		.amdhsa_ieee_mode 1
		.amdhsa_fp16_overflow 0
		.amdhsa_tg_split 0
		.amdhsa_exception_fp_ieee_invalid_op 0
		.amdhsa_exception_fp_denorm_src 0
		.amdhsa_exception_fp_ieee_div_zero 0
		.amdhsa_exception_fp_ieee_overflow 0
		.amdhsa_exception_fp_ieee_underflow 0
		.amdhsa_exception_fp_ieee_inexact 0
		.amdhsa_exception_int_div_zero 0
	.end_amdhsa_kernel
	.text
.Lfunc_end21:
	.size	naive_attention, .Lfunc_end21-naive_attention
                                        ; -- End function
	.section	.AMDGPU.csdata,"",@progbits
; Kernel info:
; codeLenInByte = 2688
; NumSgprs: 42
; NumVgprs: 28
; NumAgprs: 0
; TotalNumVgprs: 28
; ScratchSize: 0
; MemoryBound: 0
; FloatMode: 240
; IeeeMode: 1
; LDSByteSize: 268 bytes/workgroup (compile time only)
; SGPRBlocks: 5
; VGPRBlocks: 3
; NumSGPRsForWavesPerEU: 42
; NumVGPRsForWavesPerEU: 28
; AccumOffset: 28
; Occupancy: 8
; WaveLimiterHint : 0
; COMPUTE_PGM_RSRC2:SCRATCH_EN: 0
; COMPUTE_PGM_RSRC2:USER_SGPR: 6
; COMPUTE_PGM_RSRC2:TRAP_HANDLER: 0
; COMPUTE_PGM_RSRC2:TGID_X_EN: 1
; COMPUTE_PGM_RSRC2:TGID_Y_EN: 0
; COMPUTE_PGM_RSRC2:TGID_Z_EN: 0
; COMPUTE_PGM_RSRC2:TIDIG_COMP_CNT: 0
; COMPUTE_PGM_RSRC3_GFX90A:ACCUM_OFFSET: 6
; COMPUTE_PGM_RSRC3_GFX90A:TG_SPLIT: 0
	.text
	.protected	ssm_delta_net           ; -- Begin function ssm_delta_net
	.globl	ssm_delta_net
	.p2align	8
	.type	ssm_delta_net,@function
ssm_delta_net:                          ; @ssm_delta_net
; %bb.0:
	s_load_dwordx4 s[40:43], s[4:5], 0x3c
	s_add_u32 s8, s4, 56
	s_addc_u32 s9, s5, 0
	s_waitcnt lgkmcnt(0)
	s_cmp_lt_u32 s6, s40
	s_cselect_b64 s[0:1], -1, 0
	s_cmp_lt_u32 s7, s41
	s_cselect_b64 s[2:3], -1, 0
	s_and_b64 s[0:1], s[0:1], s[2:3]
	s_andn2_b64 vcc, exec, s[0:1]
	s_cbranch_vccnz .LBB22_79
; %bb.1:
	s_mul_i32 s13, s41, s6
	s_load_dwordx8 s[16:23], s[4:5], 0x20
	s_mul_hi_u32 s0, s41, s6
	s_add_u32 s2, s13, s7
	s_addc_u32 s0, s0, 0
	s_mul_i32 s0, s0, s41
	s_mul_hi_u32 s1, s2, s41
	s_add_i32 s1, s1, s0
	s_mul_i32 s0, s2, s41
	s_lshl_b64 s[0:1], s[0:1], 2
	s_waitcnt lgkmcnt(0)
	s_add_u32 s0, s18, s0
	s_addc_u32 s1, s19, s1
	v_lshlrev_b32_e32 v1, 2, v0
	global_load_dword v6, v1, s[0:1]
	s_load_dwordx8 s[24:31], s[4:5], 0x0
	s_load_dwordx2 s[2:3], s[4:5], 0x4c
	s_load_dword s10, s[4:5], 0x54
	s_load_dwordx4 s[36:39], s[8:9], 0x20
	s_load_dword s33, s[8:9], 0x30
	s_mov_b32 s12, s7
	s_mov_b32 s7, 0
	s_waitcnt lgkmcnt(0)
	s_cmp_eq_u32 s10, 0
	s_mov_b32 s34, s7
	s_cbranch_scc1 .LBB22_15
; %bb.2:
	s_cmp_eq_u32 s3, 0
	s_cbranch_scc1 .LBB22_5
; %bb.3:
	s_lshl_b64 s[8:9], s[6:7], 1
	s_add_u32 s8, s26, s8
	s_addc_u32 s9, s27, s9
	v_mov_b32_e32 v2, 0
	global_load_ushort v2, v2, s[8:9]
	s_waitcnt vmcnt(0)
	v_readfirstlane_b32 s10, v2
	s_lshr_b32 s3, s10, 15
	s_bfe_u32 s11, s10, 0x5000a
	s_cmp_gt_i32 s11, 30
	s_cbranch_scc0 .LBB22_6
; %bb.4:
	s_lshl_b32 s8, s3, 31
	s_lshl_b32 s9, s10, 13
	s_or_b32 s8, s8, s9
	s_or_b32 s34, s8, 0x7f800000
	s_cbranch_execz .LBB22_7
	s_branch .LBB22_13
.LBB22_5:
                                        ; implicit-def: $sgpr34
	s_cbranch_execnz .LBB22_14
	s_branch .LBB22_15
.LBB22_6:
                                        ; implicit-def: $sgpr34
.LBB22_7:
	s_and_b32 s14, s10, 0x3ff
	s_cmp_lg_u32 s11, 0
	s_cbranch_scc0 .LBB22_9
; %bb.8:
	s_lshl_b32 s8, s3, 31
	s_lshl_b32 s9, s11, 23
	s_or_b32 s8, s9, s8
	s_lshl_b32 s9, s14, 13
	s_or_b32 s8, s8, s9
	s_add_i32 s34, s8, 0x38000000
	s_cbranch_execz .LBB22_10
	s_branch .LBB22_13
.LBB22_9:
                                        ; implicit-def: $sgpr34
.LBB22_10:
	s_cmp_eq_u32 s14, 0
	s_cbranch_scc1 .LBB22_26
; %bb.11:
	s_flbit_i32_b32 s8, s14
	s_xor_b32 s9, s8, 31
	s_sub_i32 s9, 9, s9
	s_lshl_b32 s9, s10, s9
	s_lshl_b32 s9, s9, 14
	;; [unrolled: 1-line block ×3, first 2 shown]
	s_and_b32 s9, s9, 0x7fc000
	s_lshl_b32 s8, s8, 23
	s_or_b32 s9, s9, s10
	s_sub_i32 s8, s9, s8
	s_add_i32 s34, s8, 0x43000000
	s_cbranch_execnz .LBB22_13
.LBB22_12:
	s_lshl_b32 s34, s3, 31
.LBB22_13:
	s_branch .LBB22_15
.LBB22_14:
	s_lshl_b64 s[8:9], s[6:7], 2
	s_add_u32 s8, s26, s8
	s_addc_u32 s9, s27, s9
	s_load_dword s34, s[8:9], 0x0
.LBB22_15:
	s_cmp_eq_u32 s36, 0
	s_cselect_b64 s[18:19], -1, 0
	v_mov_b32_e32 v3, s1
	s_and_b64 vcc, exec, s[18:19]
	s_cbranch_vccnz .LBB22_33
; %bb.16:
	s_cmp_eq_u32 s2, 0
	s_cbranch_scc1 .LBB22_19
; %bb.17:
	s_lshl_b64 s[2:3], s[6:7], 1
	s_add_u32 s2, s16, s2
	s_addc_u32 s3, s17, s3
	v_mov_b32_e32 v2, 0
	global_load_ushort v2, v2, s[2:3]
	s_waitcnt vmcnt(0)
	v_readfirstlane_b32 s9, v2
	s_lshr_b32 s1, s9, 15
	s_bfe_u32 s10, s9, 0x5000a
	s_cmp_gt_i32 s10, 30
	s_cbranch_scc0 .LBB22_20
; %bb.18:
	s_lshl_b32 s2, s1, 31
	s_lshl_b32 s3, s9, 13
	s_or_b32 s2, s2, s3
	s_or_b32 s8, s2, 0x7f800000
	s_cbranch_execz .LBB22_21
	s_branch .LBB22_30
.LBB22_19:
                                        ; implicit-def: $sgpr8
	s_cbranch_execnz .LBB22_31
	s_branch .LBB22_32
.LBB22_20:
                                        ; implicit-def: $sgpr8
.LBB22_21:
	s_and_b32 s11, s9, 0x3ff
	s_cmp_lg_u32 s10, 0
	s_cbranch_scc0 .LBB22_23
; %bb.22:
	s_lshl_b32 s2, s1, 31
	s_lshl_b32 s3, s10, 23
	s_or_b32 s2, s3, s2
	s_lshl_b32 s3, s11, 13
	s_or_b32 s2, s2, s3
	s_add_i32 s8, s2, 0x38000000
	s_cbranch_execz .LBB22_24
	s_branch .LBB22_30
.LBB22_23:
                                        ; implicit-def: $sgpr8
.LBB22_24:
	s_cmp_eq_u32 s11, 0
	s_cbranch_scc1 .LBB22_27
; %bb.25:
	s_flbit_i32_b32 s2, s11
	s_xor_b32 s3, s2, 31
	s_sub_i32 s3, 9, s3
	s_lshl_b32 s3, s9, s3
	s_lshl_b32 s3, s3, 14
	;; [unrolled: 1-line block ×3, first 2 shown]
	s_and_b32 s3, s3, 0x7fc000
	s_lshl_b32 s2, s2, 23
	s_or_b32 s3, s3, s8
	s_sub_i32 s2, s3, s2
	s_add_i32 s8, s2, 0x43000000
	s_mov_b64 s[2:3], 0
	s_branch .LBB22_28
.LBB22_26:
                                        ; implicit-def: $sgpr34
	s_branch .LBB22_12
.LBB22_27:
	s_mov_b64 s[2:3], -1
                                        ; implicit-def: $sgpr8
.LBB22_28:
	s_andn2_b64 vcc, exec, s[2:3]
	s_cbranch_vccnz .LBB22_30
; %bb.29:
	s_lshl_b32 s8, s1, 31
.LBB22_30:
	s_branch .LBB22_32
.LBB22_31:
	s_lshl_b64 s[2:3], s[6:7], 2
	s_add_u32 s2, s16, s2
	s_addc_u32 s3, s17, s3
	s_load_dword s8, s[2:3], 0x0
.LBB22_32:
	s_waitcnt lgkmcnt(0)
	s_mov_b32 s7, s8
.LBB22_33:
	v_add_co_u32_e32 v2, vcc, s0, v1
	v_addc_co_u32_e32 v3, vcc, 0, v3, vcc
	s_cmp_eq_u32 s43, s40
	s_mov_b32 s16, s6
	s_cbranch_scc1 .LBB22_35
; %bb.34:
	v_cvt_f32_u32_e32 v1, s43
	s_sub_i32 s0, 0, s43
	v_rcp_iflag_f32_e32 v1, v1
	v_mul_f32_e32 v1, 0x4f7ffffe, v1
	v_cvt_u32_f32_e32 v1, v1
	v_readfirstlane_b32 s1, v1
	s_mul_i32 s0, s0, s1
	s_mul_hi_u32 s0, s1, s0
	s_add_i32 s1, s1, s0
	s_mul_hi_u32 s0, s6, s1
	s_mul_i32 s0, s0, s43
	s_sub_i32 s0, s6, s0
	s_sub_i32 s1, s0, s43
	s_cmp_ge_u32 s0, s43
	s_cselect_b32 s0, s1, s0
	s_sub_i32 s1, s0, s43
	s_cmp_ge_u32 s0, s43
	s_cselect_b32 s16, s1, s0
.LBB22_35:
	s_cmp_eq_u32 s37, 0
	s_mov_b32 s17, 0
	s_cbranch_scc1 .LBB22_78
; %bb.36:
	v_mbcnt_lo_u32_b32 v4, -1, 0
	v_mbcnt_hi_u32_b32 v4, -1, v4
	v_and_b32_e32 v5, 63, v4
	v_cmp_gt_u32_e32 vcc, 48, v5
	v_cndmask_b32_e64 v7, 0, 1, vcc
	v_cmp_gt_u32_e32 vcc, 56, v5
	v_cndmask_b32_e64 v8, 0, 1, vcc
	;; [unrolled: 2-line block ×4, first 2 shown]
	v_lshlrev_b32_e32 v7, 4, v7
	v_lshlrev_b32_e32 v8, 3, v8
	;; [unrolled: 1-line block ×4, first 2 shown]
	v_cmp_ne_u32_e32 vcc, 63, v5
	v_add_lshl_u32 v7, v7, v4, 2
	v_add_lshl_u32 v8, v8, v4, 2
	;; [unrolled: 1-line block ×4, first 2 shown]
	v_addc_co_u32_e32 v4, vcc, 0, v4, vcc
	v_lshlrev_b32_e32 v11, 2, v4
	v_cvt_f32_u32_e32 v4, s42
	s_mov_b32 s8, 0xf800000
	v_and_b32_e32 v1, 31, v0
	v_cmp_eq_u32_e64 s[2:3], 0, v1
	v_mul_f32_e32 v5, 0x4f800000, v4
	v_cmp_gt_f32_e32 vcc, s8, v4
	v_cndmask_b32_e32 v4, v4, v5, vcc
	v_sqrt_f32_e32 v5, v4
	v_lshlrev_b32_e32 v13, 2, v1
	s_load_dword s4, s[4:5], 0x7c
	s_mul_i32 s0, s43, s42
	v_add_u32_e32 v1, -1, v5
	v_fma_f32 v14, -v1, v5, v4
	v_cmp_ge_f32_e64 s[14:15], 0, v14
	v_add_u32_e32 v14, 1, v5
	v_cndmask_b32_e64 v1, v5, v1, s[14:15]
	v_fma_f32 v5, -v14, v5, v4
	v_cmp_lt_f32_e64 s[14:15], 0, v5
	v_cndmask_b32_e64 v1, v1, v14, s[14:15]
	s_waitcnt lgkmcnt(0)
	s_and_b32 s4, s4, 0xffff
	v_mul_f32_e32 v5, 0x37800000, v1
	s_add_i32 s4, s4, 31
	v_cndmask_b32_e32 v1, v1, v5, vcc
	v_mov_b32_e32 v5, 0x260
	s_add_i32 s14, s12, s13
	s_add_i32 s12, s16, s43
	s_min_u32 s1, s41, s42
	s_mul_i32 s22, s16, s42
	s_lshl_b32 s23, s0, 1
	s_lshr_b32 s4, s4, 5
	v_cmp_class_f32_e32 vcc, v4, v5
	s_mul_i32 s12, s42, s12
	v_cmp_gt_u32_e64 s[0:1], s1, v0
	v_lshrrev_b32_e32 v12, 3, v0
	v_cmp_gt_u32_e64 s[4:5], s4, v0
	v_cmp_gt_u32_e64 s[8:9], 32, v0
	v_cmp_eq_u32_e64 s[10:11], 0, v0
	v_cndmask_b32_e32 v14, v1, v4, vcc
	s_add_i32 s35, s14, s23
	v_add_u32_e32 v15, s12, v0
	v_add_u32_e32 v16, s22, v0
	v_mov_b32_e32 v1, 0
	s_mov_b32 s36, 0x3fb8aa3b
	s_mov_b32 s40, 0xc2ce8ed0
	;; [unrolled: 1-line block ×9, first 2 shown]
	v_mov_b32_e32 v17, 0x7f800000
	v_mov_b32_e32 v18, 0x4f800000
	;; [unrolled: 1-line block ×3, first 2 shown]
	s_mov_b32 s48, 0
	s_mov_b32 s22, s6
	s_branch .LBB22_38
.LBB22_37:                              ;   in Loop: Header=BB22_38 Depth=1
	s_or_b64 exec, exec, s[12:13]
	s_add_i32 s37, s37, -1
	s_add_i32 s14, s14, s33
	s_add_i32 s22, s22, s39
	;; [unrolled: 1-line block ×3, first 2 shown]
	v_cndmask_b32_e64 v6, v0, v4, s[0:1]
	s_cmp_eq_u32 s37, 0
	s_barrier
	s_cbranch_scc1 .LBB22_78
.LBB22_38:                              ; =>This Inner Loop Header: Depth=1
	v_mov_b32_e32 v20, 0
	s_and_saveexec_b64 s[12:13], s[0:1]
	s_cbranch_execz .LBB22_40
; %bb.39:                               ;   in Loop: Header=BB22_38 Depth=1
	v_add_u32_e32 v0, s48, v16
	v_lshlrev_b64 v[4:5], 2, v[0:1]
	v_mov_b32_e32 v0, s25
	v_add_co_u32_e32 v4, vcc, s24, v4
	v_addc_co_u32_e32 v5, vcc, v0, v5, vcc
	global_load_dword v20, v[4:5], off
.LBB22_40:                              ;   in Loop: Header=BB22_38 Depth=1
	s_or_b64 exec, exec, s[12:13]
	v_mov_b32_e32 v0, 0
	s_and_saveexec_b64 s[12:13], s[0:1]
	s_cbranch_execz .LBB22_42
; %bb.41:                               ;   in Loop: Header=BB22_38 Depth=1
	v_add_u32_e32 v0, s48, v15
	v_lshlrev_b64 v[4:5], 2, v[0:1]
	v_mov_b32_e32 v0, s25
	v_add_co_u32_e32 v4, vcc, s24, v4
	v_addc_co_u32_e32 v5, vcc, v0, v5, vcc
	global_load_dword v0, v[4:5], off
.LBB22_42:                              ;   in Loop: Header=BB22_38 Depth=1
	s_or_b64 exec, exec, s[12:13]
	s_waitcnt vmcnt(0)
	v_mul_f32_e32 v4, v20, v20
	ds_bpermute_b32 v4, v7, v4
	s_waitcnt lgkmcnt(0)
	v_fmac_f32_e32 v4, v20, v20
	ds_bpermute_b32 v5, v8, v4
	s_waitcnt lgkmcnt(0)
	v_add_f32_e32 v4, v4, v5
	ds_bpermute_b32 v5, v9, v4
	s_waitcnt lgkmcnt(0)
	v_add_f32_e32 v4, v4, v5
	;; [unrolled: 3-line block ×3, first 2 shown]
	ds_bpermute_b32 v5, v11, v4
	s_and_saveexec_b64 s[12:13], s[2:3]
	s_cbranch_execz .LBB22_44
; %bb.43:                               ;   in Loop: Header=BB22_38 Depth=1
	s_waitcnt lgkmcnt(0)
	v_add_f32_e32 v4, v4, v5
	ds_write_b32 v12, v4
.LBB22_44:                              ;   in Loop: Header=BB22_38 Depth=1
	s_or_b64 exec, exec, s[12:13]
	v_mov_b32_e32 v4, 0
	s_waitcnt lgkmcnt(0)
	s_barrier
	s_and_saveexec_b64 s[12:13], s[4:5]
	s_cbranch_execnz .LBB22_70
; %bb.45:                               ;   in Loop: Header=BB22_38 Depth=1
	s_or_b64 exec, exec, s[12:13]
	s_and_saveexec_b64 s[12:13], s[8:9]
	s_cbranch_execnz .LBB22_71
.LBB22_46:                              ;   in Loop: Header=BB22_38 Depth=1
	s_or_b64 exec, exec, s[12:13]
	s_and_saveexec_b64 s[12:13], s[10:11]
	s_cbranch_execz .LBB22_48
.LBB22_47:                              ;   in Loop: Header=BB22_38 Depth=1
	s_waitcnt lgkmcnt(0)
	ds_write_b32 v1, v4 offset:136
.LBB22_48:                              ;   in Loop: Header=BB22_38 Depth=1
	s_or_b64 exec, exec, s[12:13]
	s_waitcnt lgkmcnt(0)
	v_mul_f32_e32 v4, v0, v0
	ds_bpermute_b32 v4, v7, v4
	s_waitcnt lgkmcnt(0)
	s_barrier
	ds_read_b32 v21, v1 offset:136
	v_fmac_f32_e32 v4, v0, v0
	ds_bpermute_b32 v5, v8, v4
	s_waitcnt lgkmcnt(0)
	s_barrier
	v_add_f32_e32 v4, v4, v5
	ds_bpermute_b32 v5, v9, v4
	s_waitcnt lgkmcnt(0)
	v_add_f32_e32 v4, v4, v5
	ds_bpermute_b32 v5, v10, v4
	s_waitcnt lgkmcnt(0)
	v_add_f32_e32 v4, v4, v5
	ds_bpermute_b32 v5, v11, v4
	s_and_saveexec_b64 s[12:13], s[2:3]
	s_cbranch_execz .LBB22_50
; %bb.49:                               ;   in Loop: Header=BB22_38 Depth=1
	s_waitcnt lgkmcnt(0)
	v_add_f32_e32 v4, v4, v5
	ds_write_b32 v12, v4
.LBB22_50:                              ;   in Loop: Header=BB22_38 Depth=1
	s_or_b64 exec, exec, s[12:13]
	v_mov_b32_e32 v4, 0
	s_waitcnt lgkmcnt(0)
	s_barrier
	s_and_saveexec_b64 s[12:13], s[4:5]
	s_cbranch_execnz .LBB22_72
; %bb.51:                               ;   in Loop: Header=BB22_38 Depth=1
	s_or_b64 exec, exec, s[12:13]
	s_and_saveexec_b64 s[12:13], s[8:9]
	s_cbranch_execnz .LBB22_73
.LBB22_52:                              ;   in Loop: Header=BB22_38 Depth=1
	s_or_b64 exec, exec, s[12:13]
	s_and_saveexec_b64 s[12:13], s[10:11]
	s_cbranch_execz .LBB22_54
.LBB22_53:                              ;   in Loop: Header=BB22_38 Depth=1
	s_waitcnt lgkmcnt(0)
	ds_write_b32 v1, v4 offset:136
.LBB22_54:                              ;   in Loop: Header=BB22_38 Depth=1
	s_or_b64 exec, exec, s[12:13]
	s_waitcnt lgkmcnt(0)
	s_barrier
	ds_read_b32 v22, v1 offset:136
	s_waitcnt lgkmcnt(0)
	s_barrier
	s_and_saveexec_b64 s[26:27], s[10:11]
	s_cbranch_execz .LBB22_56
; %bb.55:                               ;   in Loop: Header=BB22_38 Depth=1
	s_mov_b32 s23, s17
	s_lshl_b64 s[12:13], s[22:23], 2
	s_add_u32 s50, s28, s12
	s_addc_u32 s51, s29, s13
	global_load_dword v4, v1, s[50:51]
	s_add_u32 s12, s30, s12
	s_addc_u32 s13, s31, s13
	global_load_dword v5, v1, s[12:13]
	s_waitcnt vmcnt(1)
	v_add_f32_e32 v4, s34, v4
	v_mul_f32_e32 v23, 0x3fb8aa3b, v4
	v_fma_f32 v24, v4, s36, -v23
	v_rndne_f32_e32 v25, v23
	s_waitcnt vmcnt(0)
	v_mul_f32_e32 v26, 0xbfb8aa3b, v5
	v_fmac_f32_e32 v24, 0x32a5705f, v4
	v_sub_f32_e32 v23, v23, v25
	v_fma_f32 v27, v5, s45, -v26
	v_rndne_f32_e32 v28, v26
	v_add_f32_e32 v23, v23, v24
	v_cvt_i32_f32_e32 v25, v25
	v_fmac_f32_e32 v27, 0xb2a5705f, v5
	v_sub_f32_e32 v24, v26, v28
	v_exp_f32_e32 v23, v23
	v_add_f32_e32 v24, v24, v27
	v_cvt_i32_f32_e32 v26, v28
	v_exp_f32_e32 v24, v24
	v_ldexp_f32 v23, v23, v25
	v_cmp_ngt_f32_e32 vcc, s40, v4
	v_cndmask_b32_e32 v23, 0, v23, vcc
	v_cmp_nlt_f32_e32 vcc, s41, v4
	v_ldexp_f32 v24, v24, v26
	v_cndmask_b32_e32 v4, v17, v23, vcc
	v_cmp_nlt_f32_e32 vcc, s46, v5
	v_cndmask_b32_e32 v23, 0, v24, vcc
	v_add_f32_e32 v4, 1.0, v4
	v_cmp_ngt_f32_e32 vcc, s47, v5
	v_cndmask_b32_e32 v5, v17, v23, vcc
	v_cmp_gt_f32_e32 vcc, s43, v4
	v_cndmask_b32_e32 v23, 1.0, v18, vcc
	v_mul_f32_e32 v4, v4, v23
	v_log_f32_e32 v4, v4
	v_add_f32_e32 v24, 1.0, v5
	v_div_scale_f32 v23, s[12:13], v24, v24, 1.0
	v_mul_f32_e32 v27, 0x3f317217, v4
	v_rcp_f32_e32 v25, v23
	v_fma_f32 v29, v4, s44, -v27
	v_fmac_f32_e32 v29, 0x3377d1cf, v4
	v_add_f32_e32 v27, v27, v29
	v_cmp_lt_f32_e64 s[12:13], |v4|, s42
	v_cndmask_b32_e32 v5, 0, v19, vcc
	v_cndmask_b32_e64 v4, v4, v27, s[12:13]
	v_fma_f32 v28, -v23, v25, 1.0
	v_sub_f32_e32 v4, v4, v5
	v_div_scale_f32 v26, vcc, 1.0, v24, 1.0
	v_fmac_f32_e32 v25, v28, v25
	v_mul_f32_e32 v5, s7, v4
	v_mul_f32_e32 v28, v26, v25
	v_cndmask_b32_e64 v4, v5, -v4, s[18:19]
	v_fma_f32 v29, -v23, v28, v26
	v_mul_f32_e32 v5, 0x3fb8aa3b, v4
	v_fmac_f32_e32 v28, v29, v25
	v_fma_f32 v27, v4, s36, -v5
	v_rndne_f32_e32 v29, v5
	v_fmac_f32_e32 v27, 0x32a5705f, v4
	v_sub_f32_e32 v5, v5, v29
	v_add_f32_e32 v5, v5, v27
	v_cvt_i32_f32_e32 v29, v29
	v_exp_f32_e32 v5, v5
	v_fma_f32 v23, -v23, v28, v26
	v_div_fmas_f32 v23, v23, v25, v28
	v_cmp_ngt_f32_e32 vcc, s40, v4
	v_ldexp_f32 v5, v5, v29
	v_cndmask_b32_e32 v5, 0, v5, vcc
	v_cmp_nlt_f32_e32 vcc, s41, v4
	v_cndmask_b32_e32 v5, v17, v5, vcc
	v_div_fixup_f32 v4, v23, v24, 1.0
	ds_write_b64 v1, v[4:5] offset:128
.LBB22_56:                              ;   in Loop: Header=BB22_38 Depth=1
	s_or_b64 exec, exec, s[26:27]
	s_add_i32 s16, s35, s48
	s_lshl_b64 s[12:13], s[16:17], 2
	s_add_u32 s12, s24, s12
	s_addc_u32 s13, s25, s13
	s_waitcnt lgkmcnt(0)
	s_barrier
	global_load_dword v23, v1, s[12:13]
	ds_read_b64 v[4:5], v1 offset:128
	v_max_f32_e32 v22, v22, v22
	v_max_f32_e32 v22, 0x2b8cbccc, v22
	v_rsq_f32_e32 v22, v22
	v_mul_f32_e32 v22, v0, v22
	s_waitcnt lgkmcnt(0)
	v_mul_f32_e32 v0, v6, v5
	v_mul_f32_e32 v5, v22, v0
	v_cndmask_b32_e64 v5, 0, v5, s[0:1]
	ds_bpermute_b32 v6, v7, v5
	s_waitcnt lgkmcnt(0)
	v_add_f32_e32 v5, v5, v6
	ds_bpermute_b32 v6, v8, v5
	s_waitcnt lgkmcnt(0)
	v_add_f32_e32 v5, v5, v6
	;; [unrolled: 3-line block ×4, first 2 shown]
	ds_bpermute_b32 v6, v11, v5
	s_and_saveexec_b64 s[12:13], s[2:3]
	s_cbranch_execz .LBB22_58
; %bb.57:                               ;   in Loop: Header=BB22_38 Depth=1
	s_waitcnt lgkmcnt(0)
	v_add_f32_e32 v5, v5, v6
	ds_write_b32 v12, v5
.LBB22_58:                              ;   in Loop: Header=BB22_38 Depth=1
	s_or_b64 exec, exec, s[12:13]
	v_mov_b32_e32 v5, 0
	s_waitcnt lgkmcnt(0)
	s_barrier
	s_and_saveexec_b64 s[12:13], s[4:5]
	s_cbranch_execnz .LBB22_74
; %bb.59:                               ;   in Loop: Header=BB22_38 Depth=1
	s_or_b64 exec, exec, s[12:13]
	s_and_saveexec_b64 s[12:13], s[8:9]
	s_cbranch_execnz .LBB22_75
.LBB22_60:                              ;   in Loop: Header=BB22_38 Depth=1
	s_or_b64 exec, exec, s[12:13]
	s_and_saveexec_b64 s[12:13], s[10:11]
	s_cbranch_execz .LBB22_62
.LBB22_61:                              ;   in Loop: Header=BB22_38 Depth=1
	s_waitcnt lgkmcnt(0)
	ds_write_b32 v1, v5 offset:136
.LBB22_62:                              ;   in Loop: Header=BB22_38 Depth=1
	s_or_b64 exec, exec, s[12:13]
	s_waitcnt lgkmcnt(0)
	v_max_f32_e32 v5, v21, v21
	v_max_f32_e32 v5, 0x2b8cbccc, v5
	v_rsq_f32_e32 v5, v5
	s_barrier
	v_div_scale_f32 v6, s[12:13], v14, v14, v5
	v_rcp_f32_e32 v21, v6
	v_div_scale_f32 v24, vcc, v5, v14, v5
	v_fma_f32 v25, -v6, v21, 1.0
	v_fmac_f32_e32 v21, v25, v21
	v_mul_f32_e32 v25, v24, v21
	v_fma_f32 v26, -v6, v25, v24
	v_fmac_f32_e32 v25, v26, v21
	v_fma_f32 v6, -v6, v25, v24
	ds_read_b32 v24, v1 offset:136
	v_div_fmas_f32 v6, v6, v21, v25
	v_div_fixup_f32 v5, v6, v14, v5
	v_mul_f32_e32 v5, v20, v5
	s_waitcnt vmcnt(0) lgkmcnt(0)
	v_sub_f32_e32 v6, v23, v24
	v_mul_f32_e32 v4, v4, v6
	v_fma_f32 v4, v22, v4, v0
	v_mul_f32_e32 v5, v5, v4
	v_cndmask_b32_e64 v5, 0, v5, s[0:1]
	ds_bpermute_b32 v6, v7, v5
	s_barrier
	s_waitcnt lgkmcnt(0)
	v_add_f32_e32 v5, v5, v6
	ds_bpermute_b32 v6, v8, v5
	s_waitcnt lgkmcnt(0)
	v_add_f32_e32 v5, v5, v6
	ds_bpermute_b32 v6, v9, v5
	;; [unrolled: 3-line block ×4, first 2 shown]
	s_and_saveexec_b64 s[12:13], s[2:3]
	s_cbranch_execz .LBB22_64
; %bb.63:                               ;   in Loop: Header=BB22_38 Depth=1
	s_waitcnt lgkmcnt(0)
	v_add_f32_e32 v5, v5, v6
	ds_write_b32 v12, v5
.LBB22_64:                              ;   in Loop: Header=BB22_38 Depth=1
	s_or_b64 exec, exec, s[12:13]
	v_mov_b32_e32 v5, 0
	s_waitcnt lgkmcnt(0)
	s_barrier
	s_and_saveexec_b64 s[12:13], s[4:5]
	s_cbranch_execnz .LBB22_76
; %bb.65:                               ;   in Loop: Header=BB22_38 Depth=1
	s_or_b64 exec, exec, s[12:13]
	s_and_saveexec_b64 s[12:13], s[8:9]
	s_cbranch_execnz .LBB22_77
.LBB22_66:                              ;   in Loop: Header=BB22_38 Depth=1
	s_or_b64 exec, exec, s[12:13]
	s_and_saveexec_b64 s[12:13], s[10:11]
	s_cbranch_execz .LBB22_68
.LBB22_67:                              ;   in Loop: Header=BB22_38 Depth=1
	s_waitcnt lgkmcnt(0)
	ds_write_b32 v1, v5 offset:136
.LBB22_68:                              ;   in Loop: Header=BB22_38 Depth=1
	s_or_b64 exec, exec, s[12:13]
	s_waitcnt lgkmcnt(0)
	s_barrier
	ds_read_b32 v5, v1 offset:136
	s_waitcnt lgkmcnt(0)
	s_barrier
	s_and_saveexec_b64 s[12:13], s[10:11]
	s_cbranch_execz .LBB22_37
; %bb.69:                               ;   in Loop: Header=BB22_38 Depth=1
	s_mov_b32 s15, s17
	s_lshl_b64 s[26:27], s[14:15], 2
	s_add_u32 s26, s20, s26
	s_addc_u32 s27, s21, s27
	global_store_dword v1, v5, s[26:27]
	s_branch .LBB22_37
.LBB22_70:                              ;   in Loop: Header=BB22_38 Depth=1
	ds_read_b32 v4, v13
	s_or_b64 exec, exec, s[12:13]
	s_and_saveexec_b64 s[12:13], s[8:9]
	s_cbranch_execz .LBB22_46
.LBB22_71:                              ;   in Loop: Header=BB22_38 Depth=1
	s_waitcnt lgkmcnt(0)
	ds_bpermute_b32 v5, v7, v4
	s_waitcnt lgkmcnt(0)
	v_add_f32_e32 v4, v4, v5
	ds_bpermute_b32 v5, v8, v4
	s_waitcnt lgkmcnt(0)
	v_add_f32_e32 v4, v4, v5
	;; [unrolled: 3-line block ×5, first 2 shown]
	s_or_b64 exec, exec, s[12:13]
	s_and_saveexec_b64 s[12:13], s[10:11]
	s_cbranch_execnz .LBB22_47
	s_branch .LBB22_48
.LBB22_72:                              ;   in Loop: Header=BB22_38 Depth=1
	ds_read_b32 v4, v13
	s_or_b64 exec, exec, s[12:13]
	s_and_saveexec_b64 s[12:13], s[8:9]
	s_cbranch_execz .LBB22_52
.LBB22_73:                              ;   in Loop: Header=BB22_38 Depth=1
	s_waitcnt lgkmcnt(0)
	ds_bpermute_b32 v5, v7, v4
	s_waitcnt lgkmcnt(0)
	v_add_f32_e32 v4, v4, v5
	ds_bpermute_b32 v5, v8, v4
	s_waitcnt lgkmcnt(0)
	v_add_f32_e32 v4, v4, v5
	;; [unrolled: 3-line block ×5, first 2 shown]
	s_or_b64 exec, exec, s[12:13]
	s_and_saveexec_b64 s[12:13], s[10:11]
	s_cbranch_execnz .LBB22_53
	s_branch .LBB22_54
.LBB22_74:                              ;   in Loop: Header=BB22_38 Depth=1
	ds_read_b32 v5, v13
	s_or_b64 exec, exec, s[12:13]
	s_and_saveexec_b64 s[12:13], s[8:9]
	s_cbranch_execz .LBB22_60
.LBB22_75:                              ;   in Loop: Header=BB22_38 Depth=1
	s_waitcnt lgkmcnt(0)
	ds_bpermute_b32 v6, v7, v5
	s_waitcnt lgkmcnt(0)
	v_add_f32_e32 v5, v5, v6
	ds_bpermute_b32 v6, v8, v5
	s_waitcnt lgkmcnt(0)
	v_add_f32_e32 v5, v5, v6
	;; [unrolled: 3-line block ×5, first 2 shown]
	s_or_b64 exec, exec, s[12:13]
	s_and_saveexec_b64 s[12:13], s[10:11]
	s_cbranch_execnz .LBB22_61
	s_branch .LBB22_62
.LBB22_76:                              ;   in Loop: Header=BB22_38 Depth=1
	ds_read_b32 v5, v13
	s_or_b64 exec, exec, s[12:13]
	s_and_saveexec_b64 s[12:13], s[8:9]
	s_cbranch_execz .LBB22_66
.LBB22_77:                              ;   in Loop: Header=BB22_38 Depth=1
	s_waitcnt lgkmcnt(0)
	ds_bpermute_b32 v6, v7, v5
	s_waitcnt lgkmcnt(0)
	v_add_f32_e32 v5, v5, v6
	ds_bpermute_b32 v6, v8, v5
	s_waitcnt lgkmcnt(0)
	v_add_f32_e32 v5, v5, v6
	;; [unrolled: 3-line block ×5, first 2 shown]
	s_or_b64 exec, exec, s[12:13]
	s_and_saveexec_b64 s[12:13], s[10:11]
	s_cbranch_execnz .LBB22_67
	s_branch .LBB22_68
.LBB22_78:
	s_waitcnt vmcnt(0)
	global_store_dword v[2:3], v6, off
.LBB22_79:
	s_endpgm
	.section	.rodata,"a",@progbits
	.p2align	6, 0x0
	.amdhsa_kernel ssm_delta_net
		.amdhsa_group_segment_fixed_size 140
		.amdhsa_private_segment_fixed_size 0
		.amdhsa_kernarg_size 368
		.amdhsa_user_sgpr_count 6
		.amdhsa_user_sgpr_private_segment_buffer 1
		.amdhsa_user_sgpr_dispatch_ptr 0
		.amdhsa_user_sgpr_queue_ptr 0
		.amdhsa_user_sgpr_kernarg_segment_ptr 1
		.amdhsa_user_sgpr_dispatch_id 0
		.amdhsa_user_sgpr_flat_scratch_init 0
		.amdhsa_user_sgpr_kernarg_preload_length 0
		.amdhsa_user_sgpr_kernarg_preload_offset 0
		.amdhsa_user_sgpr_private_segment_size 0
		.amdhsa_uses_dynamic_stack 0
		.amdhsa_system_sgpr_private_segment_wavefront_offset 0
		.amdhsa_system_sgpr_workgroup_id_x 1
		.amdhsa_system_sgpr_workgroup_id_y 1
		.amdhsa_system_sgpr_workgroup_id_z 0
		.amdhsa_system_sgpr_workgroup_info 0
		.amdhsa_system_vgpr_workitem_id 0
		.amdhsa_next_free_vgpr 30
		.amdhsa_next_free_sgpr 52
		.amdhsa_accum_offset 32
		.amdhsa_reserve_vcc 1
		.amdhsa_reserve_flat_scratch 0
		.amdhsa_float_round_mode_32 0
		.amdhsa_float_round_mode_16_64 0
		.amdhsa_float_denorm_mode_32 3
		.amdhsa_float_denorm_mode_16_64 3
		.amdhsa_dx10_clamp 1
		.amdhsa_ieee_mode 1
		.amdhsa_fp16_overflow 0
		.amdhsa_tg_split 0
		.amdhsa_exception_fp_ieee_invalid_op 0
		.amdhsa_exception_fp_denorm_src 0
		.amdhsa_exception_fp_ieee_div_zero 0
		.amdhsa_exception_fp_ieee_overflow 0
		.amdhsa_exception_fp_ieee_underflow 0
		.amdhsa_exception_fp_ieee_inexact 0
		.amdhsa_exception_int_div_zero 0
	.end_amdhsa_kernel
	.text
.Lfunc_end22:
	.size	ssm_delta_net, .Lfunc_end22-ssm_delta_net
                                        ; -- End function
	.section	.AMDGPU.csdata,"",@progbits
; Kernel info:
; codeLenInByte = 3340
; NumSgprs: 56
; NumVgprs: 30
; NumAgprs: 0
; TotalNumVgprs: 30
; ScratchSize: 0
; MemoryBound: 0
; FloatMode: 240
; IeeeMode: 1
; LDSByteSize: 140 bytes/workgroup (compile time only)
; SGPRBlocks: 6
; VGPRBlocks: 3
; NumSGPRsForWavesPerEU: 56
; NumVGPRsForWavesPerEU: 30
; AccumOffset: 32
; Occupancy: 8
; WaveLimiterHint : 1
; COMPUTE_PGM_RSRC2:SCRATCH_EN: 0
; COMPUTE_PGM_RSRC2:USER_SGPR: 6
; COMPUTE_PGM_RSRC2:TRAP_HANDLER: 0
; COMPUTE_PGM_RSRC2:TGID_X_EN: 1
; COMPUTE_PGM_RSRC2:TGID_Y_EN: 1
; COMPUTE_PGM_RSRC2:TGID_Z_EN: 0
; COMPUTE_PGM_RSRC2:TIDIG_COMP_CNT: 0
; COMPUTE_PGM_RSRC3_GFX90A:ACCUM_OFFSET: 7
; COMPUTE_PGM_RSRC3_GFX90A:TG_SPLIT: 0
	.text
	.protected	dmmv_q4k_fast           ; -- Begin function dmmv_q4k_fast
	.globl	dmmv_q4k_fast
	.p2align	8
	.type	dmmv_q4k_fast,@function
dmmv_q4k_fast:                          ; @dmmv_q4k_fast
; %bb.0:
	s_load_dword s0, s[4:5], 0x18
	s_add_u32 s16, s4, 24
	s_addc_u32 s17, s5, 0
	s_waitcnt lgkmcnt(0)
	s_cmp_ge_u32 s6, s0
	s_cbranch_scc1 .LBB23_37
; %bb.1:
	s_load_dwordx4 s[8:11], s[4:5], 0x1c
	s_load_dwordx2 s[12:13], s[4:5], 0x10
	s_load_dword s7, s[4:5], 0x3c
	s_load_dwordx4 s[0:3], s[4:5], 0x0
	s_load_dwordx2 s[14:15], s[16:17], 0x10
	s_waitcnt lgkmcnt(0)
	s_lshr_b32 s18, s8, 8
	v_lshrrev_b32_e32 v19, 4, v0
	s_and_b32 s7, s7, 0xffff
	v_cmp_gt_u32_e32 vcc, s18, v19
	v_mov_b32_e32 v31, 0
	s_and_saveexec_b64 s[4:5], vcc
	s_cbranch_execz .LBB23_27
; %bb.2:
	v_bfe_u32 v1, v0, 3, 1
	v_lshlrev_b32_e32 v3, 3, v0
	v_lshlrev_b32_e32 v4, 6, v1
	v_and_b32_e32 v2, 4, v0
	v_and_b32_e32 v3, 24, v3
	v_lshlrev_b32_e32 v5, 5, v1
	v_lshl_or_b32 v4, v19, 8, v4
	s_lshr_b32 s8, s9, 2
	s_mul_i32 s9, s18, s6
	s_and_b32 s10, s10, -4
	v_or3_b32 v25, v4, v3, v2
	v_or3_b32 v2, v5, v3, v2
	s_add_u32 s19, s2, s10
	v_lshrrev_b32_e32 v27, 2, v2
	v_add_u32_e32 v3, s9, v19
	v_mov_b32_e32 v2, s8
	s_addc_u32 s10, s3, 0
	v_lshlrev_b32_e32 v18, 4, v1
	s_lshr_b32 s20, s7, 4
	v_mad_u64_u32 v[20:21], s[2:3], v3, 36, v[2:3]
	v_mov_b32_e32 v1, v18
	s_lshl_b32 s21, s20, 8
	s_mul_i32 s22, s20, 36
	s_mov_b64 s[2:3], 0
	v_mov_b32_e32 v23, 0
	v_mov_b32_e32 v28, s1
	s_mov_b32 s1, 0x7f800000
	s_movk_i32 s23, 0x3ff
	s_mov_b32 s24, 0x7fc000
	s_brev_b32 s25, 1
	v_mov_b32_e32 v29, s10
	v_mov_b32_e32 v30, 13
	v_mov_b32_e32 v31, 0
	s_branch .LBB23_6
.LBB23_3:                               ;   in Loop: Header=BB23_6 Depth=1
	s_or_b64 exec, exec, s[16:17]
.LBB23_4:                               ;   in Loop: Header=BB23_6 Depth=1
	s_or_b64 exec, exec, s[10:11]
.LBB23_5:                               ;   in Loop: Header=BB23_6 Depth=1
	s_or_b64 exec, exec, s[8:9]
	v_add_u32_e32 v22, 1, v20
	v_lshlrev_b64 v[2:3], 2, v[22:23]
	v_add_co_u32_e32 v2, vcc, s0, v2
	v_add_u32_e32 v22, 2, v20
	v_addc_co_u32_e32 v3, vcc, v28, v3, vcc
	v_lshlrev_b64 v[4:5], 2, v[22:23]
	v_add_co_u32_e32 v4, vcc, s0, v4
	v_add_u32_e32 v22, 3, v20
	v_addc_co_u32_e32 v5, vcc, v28, v5, vcc
	global_load_dword v21, v[2:3], off
	global_load_dword v34, v[4:5], off
	v_lshlrev_b64 v[2:3], 2, v[22:23]
	v_add_co_u32_e32 v2, vcc, s0, v2
	v_add_u32_e32 v4, v27, v20
	v_addc_co_u32_e32 v3, vcc, v28, v3, vcc
	v_add_u32_e32 v22, 4, v4
	global_load_dword v35, v[2:3], off
	v_lshlrev_b64 v[2:3], 2, v[22:23]
	v_add_co_u32_e32 v2, vcc, s0, v2
	v_addc_co_u32_e32 v3, vcc, v28, v3, vcc
	v_add_u32_e32 v22, 20, v4
	global_load_dword v36, v[2:3], off
	v_lshlrev_b64 v[2:3], 2, v[22:23]
	v_add_co_u32_e32 v2, vcc, s0, v2
	v_addc_co_u32_e32 v3, vcc, v28, v3, vcc
	v_lshrrev_b32_e32 v22, 2, v25
	global_load_dword v50, v[2:3], off
	v_lshlrev_b64 v[2:3], 4, v[22:23]
	v_add_co_u32_e32 v32, vcc, s19, v2
	v_addc_co_u32_e32 v33, vcc, v29, v3, vcc
	global_load_dwordx4 v[10:13], v[32:33], off
	global_load_dwordx4 v[14:17], v[32:33], off offset:128
	global_load_dwordx4 v[6:9], v[32:33], off offset:640
	;; [unrolled: 1-line block ×3, first 2 shown]
	v_add_u32_e32 v19, s20, v19
	v_cmp_le_u32_e32 vcc, s18, v19
	s_or_b64 s[2:3], vcc, s[2:3]
	v_add_u32_e32 v20, s22, v20
	s_waitcnt vmcnt(8)
	v_lshrrev_b32_e32 v22, v1, v21
	v_bfe_u32 v21, v21, v1, 6
	v_lshrrev_b32_e32 v37, 2, v22
	v_lshrrev_b32_e32 v33, 10, v22
	s_waitcnt vmcnt(7)
	v_lshrrev_b32_e32 v38, v18, v34
	v_bfe_u32 v22, v22, 8, 6
	v_cvt_f32_ubyte0_e32 v32, v21
	v_bfe_u32 v34, v34, v18, 6
	v_and_b32_e32 v39, 48, v33
	s_waitcnt vmcnt(6)
	v_lshrrev_b32_e32 v21, v18, v35
	v_bfe_u32 v35, v35, v18, 4
	v_bfe_u32 v40, v38, 8, 6
	v_cvt_f32_ubyte0_e32 v33, v22
	v_lshrrev_b32_e32 v22, 2, v38
	v_lshrrev_b32_e32 v46, 10, v38
	;; [unrolled: 1-line block ×3, first 2 shown]
	v_cvt_f32_ubyte0_e32 v34, v34
	s_waitcnt vmcnt(5)
	v_bfe_u32 v44, v36, 24, 4
	v_lshrrev_b32_e32 v45, 28, v36
	v_and_or_b32 v37, v37, 48, v35
	v_cvt_f32_ubyte0_e32 v35, v40
	v_and_b32_e32 v40, 15, v36
	v_bfe_u32 v41, v36, 4, 4
	v_bfe_u32 v42, v36, 8, 4
	;; [unrolled: 1-line block ×5, first 2 shown]
	v_and_or_b32 v49, v38, 15, v39
	v_pk_mul_f32 v[32:33], v[24:25], v[32:33] op_sel_hi:[0,1]
	v_cvt_f32_ubyte0_e32 v37, v37
	v_pk_mul_f32 v[34:35], v[26:27], v[34:35] op_sel_hi:[0,1]
	v_cvt_f32_ubyte0_e32 v39, v41
	v_cvt_f32_ubyte0_e32 v38, v40
	;; [unrolled: 1-line block ×6, first 2 shown]
	v_lshrrev_b32_e32 v48, 12, v21
	v_pk_mul_f32 v[36:37], v[24:25], v[36:37] op_sel_hi:[0,1]
	v_and_b32_e32 v24, 48, v46
	s_waitcnt vmcnt(2)
	v_mov_b32_e32 v49, v14
	v_pk_fma_f32 v[40:41], v[32:33], v[40:41], v[34:35] neg_lo:[0,0,1] neg_hi:[0,0,1]
	v_mov_b32_e32 v14, v11
	v_cvt_f32_ubyte0_e32 v42, v47
	v_and_or_b32 v24, v48, 15, v24
	v_pk_fma_f32 v[38:39], v[32:33], v[38:39], v[34:35] neg_lo:[0,0,1] neg_hi:[0,0,1]
	v_mov_b32_e32 v48, v10
	v_pk_mul_f32 v[10:11], v[14:15], v[40:41]
	v_cvt_f32_ubyte0_e32 v45, v45
	v_cvt_f32_ubyte0_e32 v44, v44
	v_pk_fma_f32 v[10:11], v[48:49], v[38:39], v[10:11]
	v_pk_fma_f32 v[14:15], v[32:33], v[42:43], v[34:35] neg_lo:[0,0,1] neg_hi:[0,0,1]
	v_mov_b32_e32 v38, v12
	v_mov_b32_e32 v39, v16
	v_bfe_u32 v21, v21, 4, 4
	v_pk_fma_f32 v[10:11], v[38:39], v[14:15], v[10:11]
	v_pk_fma_f32 v[14:15], v[32:33], v[44:45], v[34:35] neg_lo:[0,0,1] neg_hi:[0,0,1]
	v_mov_b32_e32 v16, v13
	v_and_or_b32 v21, v22, 48, v21
	v_pk_fma_f32 v[10:11], v[14:15], v[16:17], v[10:11]
	v_cvt_f32_ubyte0_e32 v47, v21
	v_cvt_f32_ubyte0_e32 v46, v24
	v_add_f32_e32 v10, v31, v10
	s_waitcnt vmcnt(1)
	v_mov_b32_e32 v12, v6
	s_waitcnt vmcnt(0)
	v_mov_b32_e32 v13, v2
	v_bfe_u32 v2, v50, 12, 4
	v_bfe_u32 v6, v50, 8, 4
	v_pk_mul_f32 v[46:47], v[26:27], v[46:47] op_sel_hi:[0,1]
	v_add_f32_e32 v16, v10, v11
	v_bfe_u32 v10, v50, 4, 4
	v_and_b32_e32 v11, 15, v50
	v_cvt_f32_ubyte0_e32 v15, v6
	v_cvt_f32_ubyte0_e32 v14, v2
	;; [unrolled: 1-line block ×4, first 2 shown]
	v_pk_fma_f32 v[14:15], v[36:37], v[14:15], v[46:47] neg_lo:[0,0,1] neg_hi:[0,0,1]
	v_mov_b32_e32 v2, v7
	v_bfe_u32 v6, v50, 20, 4
	v_bfe_u32 v7, v50, 16, 4
	v_pk_fma_f32 v[10:11], v[36:37], v[10:11], v[46:47] neg_lo:[0,0,1] neg_hi:[0,0,1]
	v_pk_mul_f32 v[2:3], v[14:15], v[2:3]
	v_cvt_f32_ubyte0_e32 v7, v7
	v_cvt_f32_ubyte0_e32 v6, v6
	v_bfe_u32 v51, v50, 24, 4
	v_lshrrev_b32_e32 v52, 28, v50
	v_pk_fma_f32 v[2:3], v[10:11], v[12:13], v[2:3]
	v_pk_fma_f32 v[6:7], v[36:37], v[6:7], v[46:47] neg_lo:[0,0,1] neg_hi:[0,0,1]
	v_mov_b32_e32 v10, v8
	v_mov_b32_e32 v11, v4
	v_pk_fma_f32 v[2:3], v[6:7], v[10:11], v[2:3]
	v_cvt_f32_ubyte0_e32 v7, v51
	v_cvt_f32_ubyte0_e32 v6, v52
	v_pk_fma_f32 v[6:7], v[36:37], v[6:7], v[46:47] neg_lo:[0,0,1] neg_hi:[0,0,1]
	v_mov_b32_e32 v4, v9
	v_pk_fma_f32 v[2:3], v[6:7], v[4:5], v[2:3]
	v_add_f32_e32 v3, v16, v3
	v_add_f32_e32 v31, v3, v2
	v_add_u32_e32 v25, s21, v25
	s_andn2_b64 exec, exec, s[2:3]
	s_cbranch_execz .LBB23_26
.LBB23_6:                               ; =>This Inner Loop Header: Depth=1
	v_mov_b32_e32 v21, v23
	v_lshlrev_b64 v[2:3], 2, v[20:21]
	v_add_co_u32_e32 v2, vcc, s0, v2
	v_addc_co_u32_e32 v3, vcc, v28, v3, vcc
	global_load_dword v2, v[2:3], off
	s_waitcnt vmcnt(0)
	v_bfe_u32 v3, v2, 15, 1
	v_bfe_u32 v4, v2, 10, 5
	v_cmp_lt_i32_e32 vcc, 30, v4
	v_lshlrev_b32_e32 v24, 31, v3
	s_and_saveexec_b64 s[8:9], vcc
	s_xor_b64 s[8:9], exec, s[8:9]
; %bb.7:                                ;   in Loop: Header=BB23_6 Depth=1
	v_lshlrev_b32_e32 v3, 31, v3
	v_lshlrev_b32_sdwa v4, v30, v2 dst_sel:DWORD dst_unused:UNUSED_PAD src0_sel:DWORD src1_sel:WORD_0
	v_or3_b32 v24, v3, v4, s1
                                        ; implicit-def: $vgpr4
                                        ; implicit-def: $vgpr3
; %bb.8:                                ;   in Loop: Header=BB23_6 Depth=1
	s_andn2_saveexec_b64 s[8:9], s[8:9]
	s_cbranch_execz .LBB23_16
; %bb.9:                                ;   in Loop: Header=BB23_6 Depth=1
	v_and_b32_e32 v5, 0x3ff, v2
	v_cmp_ne_u32_e32 vcc, 0, v4
	s_and_saveexec_b64 s[10:11], vcc
	s_xor_b64 s[10:11], exec, s[10:11]
; %bb.10:                               ;   in Loop: Header=BB23_6 Depth=1
	v_lshlrev_b32_e32 v3, 31, v3
	v_lshlrev_b32_e32 v4, 23, v4
	;; [unrolled: 1-line block ×3, first 2 shown]
	v_or3_b32 v3, v4, v3, v5
	v_add_u32_e32 v24, 0x38000000, v3
                                        ; implicit-def: $vgpr5
                                        ; implicit-def: $vgpr3
; %bb.11:                               ;   in Loop: Header=BB23_6 Depth=1
	s_andn2_saveexec_b64 s[10:11], s[10:11]
	s_cbranch_execz .LBB23_15
; %bb.12:                               ;   in Loop: Header=BB23_6 Depth=1
	v_cmp_ne_u32_e32 vcc, 0, v5
	s_and_saveexec_b64 s[16:17], vcc
	s_xor_b64 s[16:17], exec, s[16:17]
; %bb.13:                               ;   in Loop: Header=BB23_6 Depth=1
	v_ffbh_u32_e32 v4, v5
	v_xor_b32_e32 v5, 31, v4
	v_sub_u32_e32 v5, 9, v5
	v_lshlrev_b32_e32 v5, v5, v2
	v_lshlrev_b32_e32 v3, 31, v3
	v_lshlrev_b32_e32 v5, 14, v5
	v_lshlrev_b32_e32 v4, 23, v4
	v_and_or_b32 v3, v5, s24, v3
	v_sub_u32_e32 v3, v3, v4
	v_add_u32_e32 v24, 0x43000000, v3
; %bb.14:                               ;   in Loop: Header=BB23_6 Depth=1
	s_andn2_saveexec_b64 s[16:17], s[16:17]
	s_or_b64 exec, exec, s[16:17]
.LBB23_15:                              ;   in Loop: Header=BB23_6 Depth=1
	s_or_b64 exec, exec, s[10:11]
.LBB23_16:                              ;   in Loop: Header=BB23_6 Depth=1
	s_or_b64 exec, exec, s[8:9]
	v_bfe_u32 v4, v2, 26, 5
	v_cmp_lt_i32_e32 vcc, 30, v4
                                        ; implicit-def: $vgpr26
	s_and_saveexec_b64 s[8:9], vcc
	s_xor_b64 s[8:9], exec, s[8:9]
; %bb.17:                               ;   in Loop: Header=BB23_6 Depth=1
	v_and_b32_e32 v3, 0x80000000, v2
	v_lshlrev_b32_sdwa v2, v30, v2 dst_sel:DWORD dst_unused:UNUSED_PAD src0_sel:DWORD src1_sel:WORD_1
	v_or3_b32 v26, v2, v3, s1
                                        ; implicit-def: $vgpr2
                                        ; implicit-def: $vgpr4
; %bb.18:                               ;   in Loop: Header=BB23_6 Depth=1
	s_andn2_saveexec_b64 s[8:9], s[8:9]
	s_cbranch_execz .LBB23_5
; %bb.19:                               ;   in Loop: Header=BB23_6 Depth=1
	v_and_b32_sdwa v3, v2, s23 dst_sel:DWORD dst_unused:UNUSED_PAD src0_sel:WORD_1 src1_sel:DWORD
	v_cmp_ne_u32_e32 vcc, 0, v4
                                        ; implicit-def: $vgpr26
	s_and_saveexec_b64 s[10:11], vcc
	s_xor_b64 s[10:11], exec, s[10:11]
; %bb.20:                               ;   in Loop: Header=BB23_6 Depth=1
	v_and_b32_e32 v2, 0x80000000, v2
	v_lshlrev_b32_e32 v4, 23, v4
	v_lshlrev_b32_e32 v3, 13, v3
	v_or3_b32 v2, v4, v2, v3
	v_add_u32_e32 v26, 0x38000000, v2
                                        ; implicit-def: $vgpr2
                                        ; implicit-def: $vgpr3
; %bb.21:                               ;   in Loop: Header=BB23_6 Depth=1
	s_andn2_saveexec_b64 s[10:11], s[10:11]
	s_cbranch_execz .LBB23_4
; %bb.22:                               ;   in Loop: Header=BB23_6 Depth=1
	v_cmp_ne_u32_e32 vcc, 0, v3
                                        ; implicit-def: $vgpr26
	s_and_saveexec_b64 s[16:17], vcc
	s_xor_b64 s[16:17], exec, s[16:17]
; %bb.23:                               ;   in Loop: Header=BB23_6 Depth=1
	v_ffbh_u32_e32 v3, v3
	v_xor_b32_e32 v4, 31, v3
	v_sub_u32_e32 v4, 9, v4
	v_lshlrev_b32_sdwa v4, v4, v2 dst_sel:DWORD dst_unused:UNUSED_PAD src0_sel:DWORD src1_sel:WORD_1
	v_lshlrev_b32_e32 v4, 14, v4
	v_and_b32_e32 v4, 0x7fc000, v4
	v_lshlrev_b32_e32 v3, 23, v3
	v_and_or_b32 v2, v2, s25, v4
	v_sub_u32_e32 v2, v2, v3
	v_add_u32_e32 v26, 0x43000000, v2
                                        ; implicit-def: $vgpr2
; %bb.24:                               ;   in Loop: Header=BB23_6 Depth=1
	s_andn2_saveexec_b64 s[16:17], s[16:17]
	s_cbranch_execz .LBB23_3
; %bb.25:                               ;   in Loop: Header=BB23_6 Depth=1
	v_and_b32_e32 v26, 0x80000000, v2
	s_branch .LBB23_3
.LBB23_26:
	s_or_b64 exec, exec, s[2:3]
.LBB23_27:
	s_or_b64 exec, exec, s[4:5]
	v_mbcnt_lo_u32_b32 v1, -1, 0
	v_mbcnt_hi_u32_b32 v4, -1, v1
	v_and_b32_e32 v6, 63, v4
	v_cmp_gt_u32_e32 vcc, 48, v6
	v_cndmask_b32_e64 v1, 0, 1, vcc
	v_lshlrev_b32_e32 v1, 4, v1
	v_add_lshl_u32 v1, v1, v4, 2
	ds_bpermute_b32 v2, v1, v31
	v_cmp_gt_u32_e32 vcc, 56, v6
	v_cndmask_b32_e64 v3, 0, 1, vcc
	v_lshlrev_b32_e32 v3, 3, v3
	v_cmp_gt_u32_e32 vcc, 60, v6
	s_waitcnt lgkmcnt(0)
	v_add_f32_e32 v5, v31, v2
	v_add_lshl_u32 v2, v3, v4, 2
	ds_bpermute_b32 v3, v2, v5
	v_cndmask_b32_e64 v7, 0, 1, vcc
	v_lshlrev_b32_e32 v7, 2, v7
	v_cmp_gt_u32_e32 vcc, 62, v6
	v_cndmask_b32_e64 v8, 0, 1, vcc
	s_waitcnt lgkmcnt(0)
	v_add_f32_e32 v5, v5, v3
	v_add_lshl_u32 v3, v7, v4, 2
	ds_bpermute_b32 v7, v3, v5
	v_lshlrev_b32_e32 v8, 1, v8
	v_cmp_ne_u32_e32 vcc, 63, v6
	v_addc_co_u32_e32 v6, vcc, 0, v4, vcc
	s_waitcnt lgkmcnt(0)
	v_add_f32_e32 v7, v5, v7
	v_add_lshl_u32 v5, v8, v4, 2
	ds_bpermute_b32 v8, v5, v7
	v_lshlrev_b32_e32 v6, 2, v6
	s_waitcnt lgkmcnt(0)
	v_add_f32_e32 v4, v7, v8
	ds_bpermute_b32 v8, v6, v4
	v_and_b32_e32 v7, 31, v0
	v_cmp_eq_u32_e32 vcc, 0, v7
	s_and_saveexec_b64 s[0:1], vcc
	s_cbranch_execz .LBB23_29
; %bb.28:
	s_waitcnt lgkmcnt(0)
	v_add_f32_e32 v4, v4, v8
	v_lshrrev_b32_e32 v8, 3, v0
	ds_write_b32 v8, v4
.LBB23_29:
	s_or_b64 exec, exec, s[0:1]
	s_add_i32 s7, s7, 31
	s_lshr_b32 s0, s7, 5
	v_cmp_gt_u32_e32 vcc, s0, v0
	v_mov_b32_e32 v4, 0
	s_waitcnt lgkmcnt(0)
	s_barrier
	s_and_saveexec_b64 s[0:1], vcc
	s_cbranch_execz .LBB23_31
; %bb.30:
	v_lshlrev_b32_e32 v4, 2, v7
	ds_read_b32 v4, v4
.LBB23_31:
	s_or_b64 exec, exec, s[0:1]
	v_cmp_gt_u32_e32 vcc, 32, v0
	s_and_saveexec_b64 s[0:1], vcc
	s_cbranch_execz .LBB23_33
; %bb.32:
	s_waitcnt lgkmcnt(0)
	ds_bpermute_b32 v1, v1, v4
	s_waitcnt lgkmcnt(0)
	v_add_f32_e32 v1, v4, v1
	ds_bpermute_b32 v2, v2, v1
	s_waitcnt lgkmcnt(0)
	v_add_f32_e32 v1, v1, v2
	;; [unrolled: 3-line block ×5, first 2 shown]
.LBB23_33:
	s_or_b64 exec, exec, s[0:1]
	s_mov_b32 s1, 0
	v_cmp_eq_u32_e32 vcc, 0, v0
	s_and_saveexec_b64 s[2:3], vcc
	s_cbranch_execz .LBB23_37
; %bb.34:
	s_lshr_b32 s0, s14, 2
	s_add_i32 s0, s0, s6
	s_lshl_b64 s[0:1], s[0:1], 2
	s_add_u32 s0, s12, s0
	s_addc_u32 s1, s13, s1
	s_cmp_eq_u32 s15, 0
	s_cbranch_scc1 .LBB23_36
; %bb.35:
	s_load_dword s2, s[0:1], 0x0
	s_waitcnt lgkmcnt(0)
	v_add_f32_e32 v4, s2, v4
.LBB23_36:
	v_mov_b32_e32 v0, 0
	s_waitcnt lgkmcnt(0)
	global_store_dword v0, v4, s[0:1]
.LBB23_37:
	s_endpgm
	.section	.rodata,"a",@progbits
	.p2align	6, 0x0
	.amdhsa_kernel dmmv_q4k_fast
		.amdhsa_group_segment_fixed_size 128
		.amdhsa_private_segment_fixed_size 0
		.amdhsa_kernarg_size 304
		.amdhsa_user_sgpr_count 6
		.amdhsa_user_sgpr_private_segment_buffer 1
		.amdhsa_user_sgpr_dispatch_ptr 0
		.amdhsa_user_sgpr_queue_ptr 0
		.amdhsa_user_sgpr_kernarg_segment_ptr 1
		.amdhsa_user_sgpr_dispatch_id 0
		.amdhsa_user_sgpr_flat_scratch_init 0
		.amdhsa_user_sgpr_kernarg_preload_length 0
		.amdhsa_user_sgpr_kernarg_preload_offset 0
		.amdhsa_user_sgpr_private_segment_size 0
		.amdhsa_uses_dynamic_stack 0
		.amdhsa_system_sgpr_private_segment_wavefront_offset 0
		.amdhsa_system_sgpr_workgroup_id_x 1
		.amdhsa_system_sgpr_workgroup_id_y 0
		.amdhsa_system_sgpr_workgroup_id_z 0
		.amdhsa_system_sgpr_workgroup_info 0
		.amdhsa_system_vgpr_workitem_id 0
		.amdhsa_next_free_vgpr 53
		.amdhsa_next_free_sgpr 26
		.amdhsa_accum_offset 56
		.amdhsa_reserve_vcc 1
		.amdhsa_reserve_flat_scratch 0
		.amdhsa_float_round_mode_32 0
		.amdhsa_float_round_mode_16_64 0
		.amdhsa_float_denorm_mode_32 3
		.amdhsa_float_denorm_mode_16_64 3
		.amdhsa_dx10_clamp 1
		.amdhsa_ieee_mode 1
		.amdhsa_fp16_overflow 0
		.amdhsa_tg_split 0
		.amdhsa_exception_fp_ieee_invalid_op 0
		.amdhsa_exception_fp_denorm_src 0
		.amdhsa_exception_fp_ieee_div_zero 0
		.amdhsa_exception_fp_ieee_overflow 0
		.amdhsa_exception_fp_ieee_underflow 0
		.amdhsa_exception_fp_ieee_inexact 0
		.amdhsa_exception_int_div_zero 0
	.end_amdhsa_kernel
	.text
.Lfunc_end23:
	.size	dmmv_q4k_fast, .Lfunc_end23-dmmv_q4k_fast
                                        ; -- End function
	.section	.AMDGPU.csdata,"",@progbits
; Kernel info:
; codeLenInByte = 1988
; NumSgprs: 30
; NumVgprs: 53
; NumAgprs: 0
; TotalNumVgprs: 53
; ScratchSize: 0
; MemoryBound: 0
; FloatMode: 240
; IeeeMode: 1
; LDSByteSize: 128 bytes/workgroup (compile time only)
; SGPRBlocks: 3
; VGPRBlocks: 6
; NumSGPRsForWavesPerEU: 30
; NumVGPRsForWavesPerEU: 53
; AccumOffset: 56
; Occupancy: 8
; WaveLimiterHint : 1
; COMPUTE_PGM_RSRC2:SCRATCH_EN: 0
; COMPUTE_PGM_RSRC2:USER_SGPR: 6
; COMPUTE_PGM_RSRC2:TRAP_HANDLER: 0
; COMPUTE_PGM_RSRC2:TGID_X_EN: 1
; COMPUTE_PGM_RSRC2:TGID_Y_EN: 0
; COMPUTE_PGM_RSRC2:TGID_Z_EN: 0
; COMPUTE_PGM_RSRC2:TIDIG_COMP_CNT: 0
; COMPUTE_PGM_RSRC3_GFX90A:ACCUM_OFFSET: 13
; COMPUTE_PGM_RSRC3_GFX90A:TG_SPLIT: 0
	.text
	.protected	dmmv_q6k_fast           ; -- Begin function dmmv_q6k_fast
	.globl	dmmv_q6k_fast
	.p2align	8
	.type	dmmv_q6k_fast,@function
dmmv_q6k_fast:                          ; @dmmv_q6k_fast
; %bb.0:
	s_load_dword s0, s[4:5], 0x18
	s_add_u32 s16, s4, 24
	s_addc_u32 s17, s5, 0
	s_waitcnt lgkmcnt(0)
	s_cmp_ge_u32 s6, s0
	s_cbranch_scc1 .LBB24_25
; %bb.1:
	s_load_dwordx4 s[0:3], s[4:5], 0x1c
	s_load_dwordx2 s[12:13], s[4:5], 0x10
	s_waitcnt lgkmcnt(0)
	s_load_dword s3, s[4:5], 0x3c
	s_load_dwordx4 s[8:11], s[4:5], 0x0
	s_load_dwordx2 s[14:15], s[16:17], 0x10
	v_lshrrev_b32_e32 v1, 4, v0
	v_mov_b32_e32 v31, 0
	s_lshr_b32 s16, s0, 8
	s_waitcnt lgkmcnt(0)
	s_and_b32 s7, s3, 0xffff
	v_cmp_gt_u32_e32 vcc, s16, v1
	s_and_saveexec_b64 s[4:5], vcc
	s_cbranch_execz .LBB24_15
; %bb.2:
	s_mul_i32 s0, s6, s16
	s_mul_hi_u32 s17, s6, s16
	s_mulk_i32 s17, 0xd2
	s_mul_hi_u32 s18, s0, 0xd2
	s_add_i32 s20, s18, s17
	s_and_b32 s2, s2, -4
	s_add_u32 s17, s10, s2
	s_addc_u32 s2, s11, 0
	s_lshr_b32 s18, s7, 4
	s_add_u32 s1, s8, s1
	s_mulk_i32 s0, 0xd2
	s_addc_u32 s8, s9, 0
	v_lshlrev_b32_e32 v2, 2, v0
	s_add_u32 s0, s1, s0
	v_bfe_u32 v4, v0, 3, 1
	v_and_b32_e32 v5, 28, v2
	v_bfe_u32 v2, v2, 4, 1
	s_addc_u32 s1, s8, s20
	s_movk_i32 s19, 0xd2
	v_lshl_or_b32 v18, v4, 3, v2
	v_pk_mov_b32 v[2:3], s[0:1], s[0:1] op_sel:[0,1]
	v_mad_u64_u32 v[2:3], s[0:1], v1, s19, v[2:3]
	s_movk_i32 s0, 0xd1
	v_add_co_u32_e32 v22, vcc, s0, v2
	v_lshl_or_b32 v2, v4, 7, v5
	s_mov_b32 s3, 0
	v_mov_b32_e32 v21, 0
	v_lshrrev_b32_e32 v2, 2, v2
	v_addc_co_u32_e32 v23, vcc, 0, v3, vcc
	s_mul_i32 s19, s18, 0xd2
	v_lshl_or_b32 v24, v4, 5, v5
	v_lshl_or_b32 v20, v1, 6, v2
	s_lshl_b32 s20, s18, 6
	v_lshl_or_b32 v26, v4, 6, v5
	s_mov_b64 s[0:1], 0
	s_mov_b32 s21, 0x6050400
	s_mov_b32 s22, 0x7f800000
	;; [unrolled: 1-line block ×3, first 2 shown]
	v_mov_b32_e32 v19, s2
	v_mov_b32_e32 v25, s3
	;; [unrolled: 1-line block ×7, first 2 shown]
	s_branch .LBB24_6
.LBB24_3:                               ;   in Loop: Header=BB24_6 Depth=1
	s_andn2_saveexec_b64 s[10:11], s[10:11]
	s_or_b64 exec, exec, s[10:11]
.LBB24_4:                               ;   in Loop: Header=BB24_6 Depth=1
	s_or_b64 exec, exec, s[8:9]
.LBB24_5:                               ;   in Loop: Header=BB24_6 Depth=1
	s_or_b64 exec, exec, s[2:3]
	v_add_co_u32_e32 v2, vcc, v22, v18
	v_addc_co_u32_e32 v3, vcc, 0, v23, vcc
	global_load_sbyte v33, v[2:3], off offset:-17
	global_load_sbyte v36, v[2:3], off offset:-15
	global_load_sbyte v37, v[2:3], off offset:-13
	global_load_sbyte v38, v[2:3], off offset:-11
	v_add_co_u32_e32 v2, vcc, v22, v26
	v_addc_co_u32_e32 v3, vcc, 0, v23, vcc
	v_add_co_u32_e32 v4, vcc, v22, v24
	v_addc_co_u32_e32 v5, vcc, 0, v23, vcc
	global_load_dword v39, v[4:5], off offset:-81
	global_load_dword v40, v[2:3], off offset:-209
	;; [unrolled: 1-line block ×3, first 2 shown]
	v_lshlrev_b64 v[2:3], 4, v[20:21]
	v_add_co_u32_e32 v34, vcc, s17, v2
	v_addc_co_u32_e32 v35, vcc, v19, v3, vcc
	global_load_dwordx4 v[14:17], v[34:35], off offset:128
	global_load_dwordx4 v[10:13], v[34:35], off
	global_load_dwordx4 v[6:9], v[34:35], off offset:256
	global_load_dwordx4 v[2:5], v[34:35], off offset:384
	v_add_co_u32_e32 v22, vcc, s19, v22
	v_add_u32_e32 v1, s18, v1
	v_addc_co_u32_e32 v23, vcc, v23, v25, vcc
	v_cmp_le_u32_e32 vcc, s16, v1
	s_or_b64 s[0:1], vcc, s[0:1]
	v_add_u32_e32 v20, s20, v20
	s_waitcnt vmcnt(10)
	v_cvt_f32_i32_e32 v33, v33
	s_waitcnt vmcnt(9)
	v_cvt_f32_i32_e32 v35, v36
	;; [unrolled: 2-line block ×4, first 2 shown]
	s_waitcnt vmcnt(6)
	v_lshlrev_b32_e32 v38, 4, v39
	s_waitcnt vmcnt(5)
	v_and_b32_e32 v36, 15, v40
	s_waitcnt vmcnt(4)
	v_and_b32_e32 v43, 15, v41
	v_lshlrev_b32_e32 v44, 2, v39
	v_bfe_u32 v46, v41, 4, 4
	v_lshrrev_b32_e32 v47, 2, v39
	v_bfe_u32 v50, v41, 8, 4
	v_lshrrev_b32_e32 v51, 6, v39
	v_bfe_u32 v45, v40, 4, 4
	v_bfe_u32 v48, v40, 8, 4
	v_lshrrev_b32_e32 v49, 4, v39
	v_and_or_b32 v36, v38, 48, v36
	v_and_or_b32 v38, v44, 48, v43
	;; [unrolled: 1-line block ×4, first 2 shown]
	v_lshrrev_b32_e32 v34, 8, v39
	v_bfe_u32 v52, v40, 12, 4
	v_and_or_b32 v43, v39, 48, v45
	v_and_or_b32 v45, v49, 48, v48
	v_subrev_u32_e32 v38, 32, v38
	v_subrev_u32_e32 v44, 32, v44
	;; [unrolled: 1-line block ×3, first 2 shown]
	v_and_or_b32 v34, v34, 48, v52
	v_subrev_u32_e32 v36, 32, v36
	v_subrev_u32_e32 v43, 32, v43
	;; [unrolled: 1-line block ×3, first 2 shown]
	v_cvt_f32_i32_e32 v49, v38
	v_cvt_f32_i32_e32 v44, v44
	;; [unrolled: 1-line block ×3, first 2 shown]
	v_bfe_u32 v53, v41, 12, 4
	v_lshrrev_b32_e32 v54, 10, v39
	v_subrev_u32_e32 v34, 32, v34
	v_cvt_f32_i32_e32 v48, v36
	v_cvt_f32_i32_e32 v43, v43
	;; [unrolled: 1-line block ×3, first 2 shown]
	v_and_or_b32 v47, v54, 48, v53
	v_cvt_f32_i32_e32 v50, v34
	v_subrev_u32_e32 v47, 32, v47
	v_mul_f32_e32 v34, v32, v33
	v_mul_f32_e32 v36, v32, v35
	;; [unrolled: 1-line block ×4, first 2 shown]
	v_cvt_f32_i32_e32 v47, v47
	v_mul_f32_e32 v35, v36, v49
	v_mul_f32_e32 v42, v32, v44
	;; [unrolled: 1-line block ×6, first 2 shown]
	s_waitcnt vmcnt(3)
	v_mul_f32_e32 v14, v14, v35
	v_mul_f32_e32 v15, v15, v44
	;; [unrolled: 1-line block ×3, first 2 shown]
	s_waitcnt vmcnt(2)
	v_fmac_f32_e32 v14, v10, v33
	v_fmac_f32_e32 v15, v11, v43
	v_lshlrev_b16_sdwa v10, v29, v39 dst_sel:DWORD dst_unused:UNUSED_PAD src0_sel:DWORD src1_sel:WORD_1
	v_lshlrev_b16_sdwa v11, v29, v39 dst_sel:DWORD dst_unused:UNUSED_PAD src0_sel:DWORD src1_sel:BYTE_3
	s_waitcnt vmcnt(1)
	v_fmac_f32_e32 v14, v6, v37
	v_fmac_f32_e32 v15, v7, v45
	v_and_b32_sdwa v6, v41, v27 dst_sel:DWORD dst_unused:UNUSED_PAD src0_sel:BYTE_3 src1_sel:DWORD
	v_and_b32_sdwa v7, v41, v27 dst_sel:DWORD dst_unused:UNUSED_PAD src0_sel:WORD_1 src1_sel:DWORD
	v_and_b32_e32 v11, 48, v11
	v_and_b32_e32 v10, 48, v10
	v_mul_f32_e32 v46, v32, v47
	s_waitcnt vmcnt(0)
	v_fmac_f32_e32 v14, v2, v42
	v_or_b32_e32 v7, v10, v7
	v_or_b32_e32 v6, v11, v6
	v_fmac_f32_e32 v15, v3, v46
	v_add_f32_e32 v2, v31, v14
	v_subrev_u16_e32 v10, 32, v7
	v_subrev_u16_e32 v6, 32, v6
	v_lshrrev_b32_e32 v11, 20, v40
	v_add_f32_e32 v31, v2, v15
	v_lshlrev_b16_sdwa v2, v28, v39 dst_sel:DWORD dst_unused:UNUSED_PAD src0_sel:DWORD src1_sel:WORD_1
	v_lshlrev_b16_sdwa v3, v28, v39 dst_sel:DWORD dst_unused:UNUSED_PAD src0_sel:DWORD src1_sel:BYTE_3
	v_cvt_f32_i32_sdwa v7, sext(v6) dst_sel:DWORD dst_unused:UNUSED_PAD src0_sel:WORD_0
	v_cvt_f32_i32_sdwa v6, sext(v10) dst_sel:DWORD dst_unused:UNUSED_PAD src0_sel:WORD_0
	v_lshrrev_b16_sdwa v10, v28, v40 dst_sel:DWORD dst_unused:UNUSED_PAD src0_sel:DWORD src1_sel:BYTE_3
	v_and_b32_e32 v11, 15, v11
	v_and_b32_sdwa v55, v40, v27 dst_sel:DWORD dst_unused:UNUSED_PAD src0_sel:BYTE_3 src1_sel:DWORD
	v_and_b32_sdwa v56, v40, v27 dst_sel:DWORD dst_unused:UNUSED_PAD src0_sel:WORD_1 src1_sel:DWORD
	v_and_b32_e32 v3, 48, v3
	v_and_b32_e32 v2, 48, v2
	v_and_b32_sdwa v14, v39, v30 dst_sel:DWORD dst_unused:UNUSED_PAD src0_sel:BYTE_3 src1_sel:DWORD
	v_and_b32_sdwa v15, v39, v30 dst_sel:DWORD dst_unused:UNUSED_PAD src0_sel:WORD_1 src1_sel:DWORD
	v_or_b32_e32 v11, 0xffffffe0, v11
	v_or_b32_e32 v10, 0xffffffe0, v10
	;; [unrolled: 1-line block ×4, first 2 shown]
	v_add_u32_sdwa v15, sext(v11), v15 dst_sel:DWORD dst_unused:UNUSED_PAD src0_sel:WORD_0 src1_sel:DWORD
	v_add_u32_sdwa v10, sext(v10), v14 dst_sel:DWORD dst_unused:UNUSED_PAD src0_sel:WORD_0 src1_sel:DWORD
	v_lshrrev_b32_e32 v14, 20, v41
	v_lshrrev_b16_sdwa v33, v29, v39 dst_sel:DWORD dst_unused:UNUSED_PAD src0_sel:DWORD src1_sel:BYTE_3
	v_lshrrev_b32_e32 v35, 18, v39
	v_subrev_u16_e32 v2, 32, v2
	v_subrev_u16_e32 v3, 32, v3
	v_cvt_f32_i32_e32 v11, v10
	v_cvt_f32_i32_e32 v10, v15
	v_and_b32_e32 v14, 15, v14
	v_lshrrev_b16_sdwa v15, v28, v41 dst_sel:DWORD dst_unused:UNUSED_PAD src0_sel:DWORD src1_sel:BYTE_3
	v_and_b32_e32 v35, 48, v35
	v_and_b32_e32 v33, 48, v33
	v_cvt_f32_i32_sdwa v3, sext(v3) dst_sel:DWORD dst_unused:UNUSED_PAD src0_sel:WORD_0
	v_cvt_f32_i32_sdwa v2, sext(v2) dst_sel:DWORD dst_unused:UNUSED_PAD src0_sel:WORD_0
	v_or_b32_e32 v15, v33, v15
	v_or_b32_e32 v14, v35, v14
	v_subrev_u16_e32 v15, 32, v15
	v_subrev_u16_e32 v14, 32, v14
	v_cvt_f32_i32_sdwa v14, sext(v14) dst_sel:DWORD dst_unused:UNUSED_PAD src0_sel:WORD_0
	v_cvt_f32_i32_sdwa v15, sext(v15) dst_sel:DWORD dst_unused:UNUSED_PAD src0_sel:WORD_0
	v_pk_mul_f32 v[6:7], v[36:37], v[6:7] op_sel_hi:[0,1]
	v_pk_mul_f32 v[2:3], v[34:35], v[2:3] op_sel_hi:[0,1]
	v_pk_mul_f32 v[6:7], v[16:17], v[6:7]
	v_pk_fma_f32 v[2:3], v[12:13], v[2:3], v[6:7]
	v_pk_mul_f32 v[6:7], v[38:39], v[10:11] op_sel_hi:[0,1]
	v_pk_fma_f32 v[2:3], v[8:9], v[6:7], v[2:3]
	v_pk_mul_f32 v[6:7], v[32:33], v[14:15] op_sel_hi:[0,1]
	v_pk_fma_f32 v[2:3], v[4:5], v[6:7], v[2:3]
	v_add_f32_e32 v2, v31, v2
	v_add_f32_e32 v31, v2, v3
	s_andn2_b64 exec, exec, s[0:1]
	s_cbranch_execz .LBB24_14
.LBB24_6:                               ; =>This Inner Loop Header: Depth=1
	global_load_ushort v2, v[22:23], off offset:-1
	s_waitcnt vmcnt(0)
	v_lshrrev_b16_e32 v4, 8, v2
	v_perm_b32 v2, v4, v2, s21
	v_lshrrev_b32_e32 v3, 7, v4
	v_bfe_u32 v4, v4, 2, 5
	v_cmp_lt_i32_e32 vcc, 30, v4
	v_lshlrev_b32_e32 v32, 31, v3
	s_and_saveexec_b64 s[2:3], vcc
	s_xor_b64 s[2:3], exec, s[2:3]
; %bb.7:                                ;   in Loop: Header=BB24_6 Depth=1
	v_lshlrev_b32_e32 v3, 31, v3
	v_lshlrev_b32_e32 v2, 13, v2
	v_or3_b32 v32, v2, v3, s22
                                        ; implicit-def: $vgpr2
                                        ; implicit-def: $vgpr4
                                        ; implicit-def: $vgpr3
; %bb.8:                                ;   in Loop: Header=BB24_6 Depth=1
	s_andn2_saveexec_b64 s[2:3], s[2:3]
	s_cbranch_execz .LBB24_5
; %bb.9:                                ;   in Loop: Header=BB24_6 Depth=1
	v_and_b32_e32 v5, 0x3ff, v2
	v_cmp_ne_u32_e32 vcc, 0, v4
	s_and_saveexec_b64 s[8:9], vcc
	s_xor_b64 s[8:9], exec, s[8:9]
; %bb.10:                               ;   in Loop: Header=BB24_6 Depth=1
	v_lshlrev_b32_e32 v2, 31, v3
	v_lshlrev_b32_e32 v3, 23, v4
	;; [unrolled: 1-line block ×3, first 2 shown]
	v_or3_b32 v2, v3, v2, v4
	v_add_u32_e32 v32, 0x38000000, v2
                                        ; implicit-def: $vgpr5
                                        ; implicit-def: $vgpr2
                                        ; implicit-def: $vgpr3
; %bb.11:                               ;   in Loop: Header=BB24_6 Depth=1
	s_andn2_saveexec_b64 s[8:9], s[8:9]
	s_cbranch_execz .LBB24_4
; %bb.12:                               ;   in Loop: Header=BB24_6 Depth=1
	v_cmp_ne_u32_e32 vcc, 0, v5
	s_and_saveexec_b64 s[10:11], vcc
	s_xor_b64 s[10:11], exec, s[10:11]
	s_cbranch_execz .LBB24_3
; %bb.13:                               ;   in Loop: Header=BB24_6 Depth=1
	v_ffbh_u32_e32 v4, v5
	v_xor_b32_e32 v5, 31, v4
	v_sub_u32_e32 v5, 9, v5
	v_lshlrev_b32_e32 v2, v5, v2
	v_lshlrev_b32_e32 v3, 31, v3
	;; [unrolled: 1-line block ×4, first 2 shown]
	v_and_or_b32 v2, v2, s23, v3
	v_sub_u32_e32 v2, v2, v4
	v_add_u32_e32 v32, 0x43000000, v2
	s_branch .LBB24_3
.LBB24_14:
	s_or_b64 exec, exec, s[0:1]
.LBB24_15:
	s_or_b64 exec, exec, s[4:5]
	v_mbcnt_lo_u32_b32 v1, -1, 0
	v_mbcnt_hi_u32_b32 v4, -1, v1
	v_and_b32_e32 v6, 63, v4
	v_cmp_gt_u32_e32 vcc, 48, v6
	v_cndmask_b32_e64 v1, 0, 1, vcc
	v_lshlrev_b32_e32 v1, 4, v1
	v_add_lshl_u32 v1, v1, v4, 2
	ds_bpermute_b32 v2, v1, v31
	v_cmp_gt_u32_e32 vcc, 56, v6
	v_cndmask_b32_e64 v3, 0, 1, vcc
	v_lshlrev_b32_e32 v3, 3, v3
	v_cmp_gt_u32_e32 vcc, 60, v6
	s_waitcnt lgkmcnt(0)
	v_add_f32_e32 v5, v31, v2
	v_add_lshl_u32 v2, v3, v4, 2
	ds_bpermute_b32 v3, v2, v5
	v_cndmask_b32_e64 v7, 0, 1, vcc
	v_lshlrev_b32_e32 v7, 2, v7
	v_cmp_gt_u32_e32 vcc, 62, v6
	v_cndmask_b32_e64 v8, 0, 1, vcc
	s_waitcnt lgkmcnt(0)
	v_add_f32_e32 v5, v5, v3
	v_add_lshl_u32 v3, v7, v4, 2
	ds_bpermute_b32 v7, v3, v5
	v_lshlrev_b32_e32 v8, 1, v8
	v_cmp_ne_u32_e32 vcc, 63, v6
	v_addc_co_u32_e32 v6, vcc, 0, v4, vcc
	s_waitcnt lgkmcnt(0)
	v_add_f32_e32 v7, v5, v7
	v_add_lshl_u32 v5, v8, v4, 2
	ds_bpermute_b32 v8, v5, v7
	v_lshlrev_b32_e32 v6, 2, v6
	s_waitcnt lgkmcnt(0)
	v_add_f32_e32 v4, v7, v8
	ds_bpermute_b32 v8, v6, v4
	v_and_b32_e32 v7, 31, v0
	v_cmp_eq_u32_e32 vcc, 0, v7
	s_and_saveexec_b64 s[0:1], vcc
	s_cbranch_execz .LBB24_17
; %bb.16:
	s_waitcnt lgkmcnt(0)
	v_add_f32_e32 v4, v4, v8
	v_lshrrev_b32_e32 v8, 3, v0
	ds_write_b32 v8, v4
.LBB24_17:
	s_or_b64 exec, exec, s[0:1]
	s_add_i32 s7, s7, 31
	s_lshr_b32 s0, s7, 5
	v_cmp_gt_u32_e32 vcc, s0, v0
	v_mov_b32_e32 v4, 0
	s_waitcnt lgkmcnt(0)
	s_barrier
	s_and_saveexec_b64 s[0:1], vcc
	s_cbranch_execz .LBB24_19
; %bb.18:
	v_lshlrev_b32_e32 v4, 2, v7
	ds_read_b32 v4, v4
.LBB24_19:
	s_or_b64 exec, exec, s[0:1]
	v_cmp_gt_u32_e32 vcc, 32, v0
	s_and_saveexec_b64 s[0:1], vcc
	s_cbranch_execz .LBB24_21
; %bb.20:
	s_waitcnt lgkmcnt(0)
	ds_bpermute_b32 v1, v1, v4
	s_waitcnt lgkmcnt(0)
	v_add_f32_e32 v1, v4, v1
	ds_bpermute_b32 v2, v2, v1
	s_waitcnt lgkmcnt(0)
	v_add_f32_e32 v1, v1, v2
	;; [unrolled: 3-line block ×5, first 2 shown]
.LBB24_21:
	s_or_b64 exec, exec, s[0:1]
	s_mov_b32 s1, 0
	v_cmp_eq_u32_e32 vcc, 0, v0
	s_and_saveexec_b64 s[2:3], vcc
	s_cbranch_execz .LBB24_25
; %bb.22:
	s_lshr_b32 s0, s14, 2
	s_add_i32 s0, s0, s6
	s_lshl_b64 s[0:1], s[0:1], 2
	s_add_u32 s0, s12, s0
	s_addc_u32 s1, s13, s1
	s_cmp_eq_u32 s15, 0
	s_cbranch_scc1 .LBB24_24
; %bb.23:
	s_load_dword s2, s[0:1], 0x0
	s_waitcnt lgkmcnt(0)
	v_add_f32_e32 v4, s2, v4
.LBB24_24:
	v_mov_b32_e32 v0, 0
	s_waitcnt lgkmcnt(0)
	global_store_dword v0, v4, s[0:1]
.LBB24_25:
	s_endpgm
	.section	.rodata,"a",@progbits
	.p2align	6, 0x0
	.amdhsa_kernel dmmv_q6k_fast
		.amdhsa_group_segment_fixed_size 128
		.amdhsa_private_segment_fixed_size 0
		.amdhsa_kernarg_size 304
		.amdhsa_user_sgpr_count 6
		.amdhsa_user_sgpr_private_segment_buffer 1
		.amdhsa_user_sgpr_dispatch_ptr 0
		.amdhsa_user_sgpr_queue_ptr 0
		.amdhsa_user_sgpr_kernarg_segment_ptr 1
		.amdhsa_user_sgpr_dispatch_id 0
		.amdhsa_user_sgpr_flat_scratch_init 0
		.amdhsa_user_sgpr_kernarg_preload_length 0
		.amdhsa_user_sgpr_kernarg_preload_offset 0
		.amdhsa_user_sgpr_private_segment_size 0
		.amdhsa_uses_dynamic_stack 0
		.amdhsa_system_sgpr_private_segment_wavefront_offset 0
		.amdhsa_system_sgpr_workgroup_id_x 1
		.amdhsa_system_sgpr_workgroup_id_y 0
		.amdhsa_system_sgpr_workgroup_id_z 0
		.amdhsa_system_sgpr_workgroup_info 0
		.amdhsa_system_vgpr_workitem_id 0
		.amdhsa_next_free_vgpr 57
		.amdhsa_next_free_sgpr 24
		.amdhsa_accum_offset 60
		.amdhsa_reserve_vcc 1
		.amdhsa_reserve_flat_scratch 0
		.amdhsa_float_round_mode_32 0
		.amdhsa_float_round_mode_16_64 0
		.amdhsa_float_denorm_mode_32 3
		.amdhsa_float_denorm_mode_16_64 3
		.amdhsa_dx10_clamp 1
		.amdhsa_ieee_mode 1
		.amdhsa_fp16_overflow 0
		.amdhsa_tg_split 0
		.amdhsa_exception_fp_ieee_invalid_op 0
		.amdhsa_exception_fp_denorm_src 0
		.amdhsa_exception_fp_ieee_div_zero 0
		.amdhsa_exception_fp_ieee_overflow 0
		.amdhsa_exception_fp_ieee_underflow 0
		.amdhsa_exception_fp_ieee_inexact 0
		.amdhsa_exception_int_div_zero 0
	.end_amdhsa_kernel
	.text
.Lfunc_end24:
	.size	dmmv_q6k_fast, .Lfunc_end24-dmmv_q6k_fast
                                        ; -- End function
	.section	.AMDGPU.csdata,"",@progbits
; Kernel info:
; codeLenInByte = 1916
; NumSgprs: 28
; NumVgprs: 57
; NumAgprs: 0
; TotalNumVgprs: 57
; ScratchSize: 0
; MemoryBound: 0
; FloatMode: 240
; IeeeMode: 1
; LDSByteSize: 128 bytes/workgroup (compile time only)
; SGPRBlocks: 3
; VGPRBlocks: 7
; NumSGPRsForWavesPerEU: 28
; NumVGPRsForWavesPerEU: 57
; AccumOffset: 60
; Occupancy: 8
; WaveLimiterHint : 1
; COMPUTE_PGM_RSRC2:SCRATCH_EN: 0
; COMPUTE_PGM_RSRC2:USER_SGPR: 6
; COMPUTE_PGM_RSRC2:TRAP_HANDLER: 0
; COMPUTE_PGM_RSRC2:TGID_X_EN: 1
; COMPUTE_PGM_RSRC2:TGID_Y_EN: 0
; COMPUTE_PGM_RSRC2:TGID_Z_EN: 0
; COMPUTE_PGM_RSRC2:TIDIG_COMP_CNT: 0
; COMPUTE_PGM_RSRC3_GFX90A:ACCUM_OFFSET: 14
; COMPUTE_PGM_RSRC3_GFX90A:TG_SPLIT: 0
	.text
	.protected	dmmv_q5k_fast           ; -- Begin function dmmv_q5k_fast
	.globl	dmmv_q5k_fast
	.p2align	8
	.type	dmmv_q5k_fast,@function
dmmv_q5k_fast:                          ; @dmmv_q5k_fast
; %bb.0:
	s_load_dword s0, s[4:5], 0x18
	s_add_u32 s16, s4, 24
	s_addc_u32 s17, s5, 0
	s_waitcnt lgkmcnt(0)
	s_cmp_ge_u32 s6, s0
	s_cbranch_scc1 .LBB25_37
; %bb.1:
	s_load_dwordx4 s[8:11], s[4:5], 0x1c
	s_load_dwordx2 s[12:13], s[4:5], 0x10
	s_load_dword s7, s[4:5], 0x3c
	s_load_dwordx4 s[0:3], s[4:5], 0x0
	s_load_dwordx2 s[14:15], s[16:17], 0x10
	s_waitcnt lgkmcnt(0)
	s_lshr_b32 s18, s8, 8
	v_lshrrev_b32_e32 v11, 4, v0
	s_and_b32 s7, s7, 0xffff
	v_cmp_gt_u32_e32 vcc, s18, v11
	v_mov_b32_e32 v33, 0
	s_and_saveexec_b64 s[4:5], vcc
	s_cbranch_execz .LBB25_27
; %bb.2:
	v_and_b32_e32 v13, 4, v0
	v_lshlrev_b32_e32 v14, 3, v0
	v_bfe_u32 v12, v0, 3, 1
	v_and_or_b32 v14, v14, 24, v13
	s_lshr_b32 s8, s9, 2
	s_mul_i32 s9, s18, s6
	s_and_b32 s10, s10, -4
	v_lshlrev_b32_e32 v15, 6, v12
	v_lshlrev_b32_e32 v2, 4, v12
	v_lshlrev_b32_e32 v17, 1, v12
	v_lshl_or_b32 v12, v12, 5, v14
	s_add_u32 s19, s2, s10
	v_lshrrev_b32_e32 v29, 2, v12
	v_add_u32_e32 v13, s9, v11
	v_mov_b32_e32 v12, s8
	s_addc_u32 s20, s3, 0
	v_mad_u64_u32 v[12:13], s[2:3], v13, 44, v[12:13]
	s_lshr_b32 s21, s7, 4
	v_lshlrev_b32_e32 v16, 8, v11
	v_lshrrev_b32_e32 v13, 2, v14
	v_or_b32_e32 v19, 1, v17
	v_or_b32_e32 v22, 4, v17
	;; [unrolled: 1-line block ×15, first 2 shown]
	v_mov_b32_e32 v9, v2
	v_or3_b32 v28, v16, v15, v14
	s_lshl_b32 s22, s21, 8
	s_mul_i32 s23, s21, 44
	v_add_u32_e32 v30, 4, v13
	s_mov_b64 s[2:3], 0
	v_mov_b32_e32 v15, 0
	v_mov_b32_e32 v31, s1
	s_mov_b32 s24, 0x7f800000
	s_movk_i32 s25, 0x3ff
	s_mov_b32 s26, 0x7fc000
	s_brev_b32 s27, 1
	v_mov_b32_e32 v32, 13
	v_mov_b32_e32 v33, 0
	s_branch .LBB25_6
.LBB25_3:                               ;   in Loop: Header=BB25_6 Depth=1
	s_or_b64 exec, exec, s[16:17]
.LBB25_4:                               ;   in Loop: Header=BB25_6 Depth=1
	s_or_b64 exec, exec, s[10:11]
.LBB25_5:                               ;   in Loop: Header=BB25_6 Depth=1
	s_or_b64 exec, exec, s[8:9]
	v_add_u32_e32 v14, 1, v12
	v_lshlrev_b64 v[20:21], 2, v[14:15]
	v_mov_b32_e32 v36, s1
	v_add_co_u32_e32 v20, vcc, s0, v20
	v_add_u32_e32 v14, 2, v12
	v_addc_co_u32_e32 v21, vcc, v36, v21, vcc
	v_lshlrev_b64 v[34:35], 2, v[14:15]
	v_add_co_u32_e32 v34, vcc, s0, v34
	v_add_u32_e32 v14, 3, v12
	v_addc_co_u32_e32 v35, vcc, v36, v35, vcc
	global_load_dword v37, v[20:21], off
	global_load_dword v38, v[34:35], off
	v_lshlrev_b64 v[20:21], 2, v[14:15]
	v_add_u32_e32 v14, v30, v12
	v_lshlrev_b64 v[34:35], 2, v[14:15]
	v_add_co_u32_e32 v34, vcc, s0, v34
	v_add_u32_e32 v39, v29, v12
	v_addc_co_u32_e32 v35, vcc, v36, v35, vcc
	v_add_u32_e32 v14, 12, v39
	global_load_dword v13, v[34:35], off
	v_lshlrev_b64 v[34:35], 2, v[14:15]
	v_add_co_u32_e32 v34, vcc, s0, v34
	v_addc_co_u32_e32 v35, vcc, v36, v35, vcc
	global_load_dword v52, v[34:35], off
	v_add_co_u32_e32 v20, vcc, s0, v20
	v_addc_co_u32_e32 v21, vcc, v36, v21, vcc
	global_load_dword v53, v[20:21], off
	v_add_u32_e32 v14, 28, v39
	v_lshlrev_b64 v[20:21], 2, v[14:15]
	v_lshrrev_b32_e32 v14, 2, v28
	v_add_co_u32_e32 v20, vcc, s0, v20
	v_addc_co_u32_e32 v21, vcc, v36, v21, vcc
	v_lshlrev_b64 v[34:35], 4, v[14:15]
	v_mov_b32_e32 v40, s20
	global_load_dword v14, v[20:21], off
	v_add_co_u32_e32 v20, vcc, s19, v34
	v_addc_co_u32_e32 v21, vcc, v40, v35, vcc
	v_add_u32_e32 v11, s21, v11
	v_cmp_le_u32_e32 vcc, s18, v11
	v_add_u32_e32 v28, s22, v28
	s_or_b64 s[2:3], vcc, s[2:3]
	v_add_u32_e32 v12, s23, v12
	s_waitcnt vmcnt(5)
	v_lshrrev_b32_e32 v54, v9, v37
	s_waitcnt vmcnt(4)
	v_lshrrev_b32_e32 v55, v2, v38
	v_bfe_u32 v34, v37, v9, 6
	v_bfe_u32 v35, v38, v2, 6
	;; [unrolled: 1-line block ×4, first 2 shown]
	v_cvt_f32_ubyte0_e32 v34, v34
	v_cvt_f32_ubyte0_e32 v36, v35
	;; [unrolled: 1-line block ×4, first 2 shown]
	v_pk_mul_f32 v[42:43], v[16:17], v[34:35] op_sel_hi:[0,1]
	s_waitcnt vmcnt(3)
	v_lshrrev_b32_e32 v39, v17, v13
	v_lshrrev_b32_e32 v40, v19, v13
	v_lshrrev_b32_e32 v38, v1, v13
	v_lshrrev_b32_e32 v41, v4, v13
	v_lshlrev_b32_e32 v34, 4, v39
	v_lshlrev_b32_e32 v39, 4, v40
	v_pk_mul_f32 v[44:45], v[18:19], v[36:37] op_sel_hi:[0,1]
	s_waitcnt vmcnt(2)
	v_and_b32_e32 v36, 15, v52
	v_lshlrev_b32_e32 v40, 4, v41
	v_lshlrev_b32_e32 v38, 4, v38
	v_lshrrev_b32_e32 v35, 4, v52
	v_lshrrev_b32_e32 v37, 12, v52
	v_and_or_b32 v34, v34, 16, v36
	v_lshrrev_b32_e32 v36, 8, v52
	v_and_b32_e32 v39, 16, v39
	v_and_b32_e32 v38, 16, v38
	;; [unrolled: 1-line block ×3, first 2 shown]
	v_and_or_b32 v35, v35, 15, v39
	v_cvt_f32_ubyte0_e32 v46, v34
	v_and_or_b32 v34, v36, 15, v40
	v_and_or_b32 v36, v37, 15, v38
	v_cvt_f32_ubyte0_e32 v47, v35
	v_cvt_f32_ubyte0_e32 v49, v36
	;; [unrolled: 1-line block ×3, first 2 shown]
	global_load_dwordx4 v[34:37], v[20:21], off
	global_load_dwordx4 v[38:41], v[20:21], off offset:128
	v_pk_fma_f32 v[48:49], v[42:43], v[48:49], v[44:45] neg_lo:[0,0,1] neg_hi:[0,0,1]
	v_pk_fma_f32 v[46:47], v[42:43], v[46:47], v[44:45] neg_lo:[0,0,1] neg_hi:[0,0,1]
	s_waitcnt vmcnt(1)
	v_mov_b32_e32 v50, v34
	s_waitcnt vmcnt(0)
	v_mov_b32_e32 v51, v38
	v_mov_b32_e32 v38, v35
	v_pk_mul_f32 v[34:35], v[38:39], v[48:49]
	v_lshrrev_b32_e32 v38, v6, v13
	v_lshlrev_b32_e32 v38, 4, v38
	v_and_b32_e32 v38, 16, v38
	v_lshrrev_b32_e32 v39, 16, v52
	v_and_or_b32 v38, v39, 15, v38
	v_lshrrev_b32_e32 v39, v3, v13
	v_lshlrev_b32_e32 v39, 4, v39
	v_pk_fma_f32 v[34:35], v[50:51], v[46:47], v[34:35]
	v_and_b32_e32 v39, 16, v39
	v_lshrrev_b32_e32 v46, 20, v52
	v_and_or_b32 v39, v46, 15, v39
	v_cvt_f32_ubyte0_e32 v39, v39
	v_cvt_f32_ubyte0_e32 v38, v38
	v_pk_fma_f32 v[38:39], v[42:43], v[38:39], v[44:45] neg_lo:[0,0,1] neg_hi:[0,0,1]
	v_mov_b32_e32 v46, v36
	v_mov_b32_e32 v47, v40
	v_pk_fma_f32 v[38:39], v[46:47], v[38:39], v[34:35]
	v_lshrrev_b32_e32 v34, v24, v13
	v_lshlrev_b32_e32 v34, 4, v34
	v_and_b32_e32 v34, 16, v34
	v_lshrrev_b32_e32 v35, 24, v52
	v_and_or_b32 v34, v35, 15, v34
	v_lshrrev_b32_e32 v35, v25, v13
	v_alignbit_b32 v35, v35, v52, 28
	v_and_b32_e32 v35, 31, v35
	v_cvt_f32_ubyte0_e32 v35, v35
	v_cvt_f32_ubyte0_e32 v34, v34
	v_pk_fma_f32 v[42:43], v[42:43], v[34:35], v[44:45] neg_lo:[0,0,1] neg_hi:[0,0,1]
	v_mov_b32_e32 v40, v37
	global_load_dwordx4 v[34:37], v[20:21], off offset:640
	v_pk_fma_f32 v[42:43], v[40:41], v[42:43], v[38:39]
	global_load_dwordx4 v[38:41], v[20:21], off offset:512
	v_lshrrev_b32_e32 v20, v22, v13
	v_lshrrev_b32_e32 v44, v2, v53
	;; [unrolled: 1-line block ×3, first 2 shown]
	v_lshlrev_b32_e32 v46, 4, v20
	v_lshrrev_b32_e32 v20, 8, v44
	v_and_b32_e32 v21, 48, v21
	v_and_or_b32 v20, v20, 15, v21
	v_lshrrev_b32_e32 v21, 2, v54
	v_bfe_u32 v45, v53, v2, 4
	v_and_or_b32 v21, v21, 48, v45
	v_lshrrev_b32_e32 v45, v26, v13
	v_lshlrev_b32_e32 v45, 4, v45
	v_cvt_f32_ubyte0_e32 v21, v21
	v_cvt_f32_ubyte0_e32 v20, v20
	v_and_b32_e32 v51, 16, v45
	v_lshrrev_b32_e32 v45, 10, v55
	v_pk_mul_f32 v[20:21], v[16:17], v[20:21] op_sel_hi:[0,1]
	v_lshrrev_b32_e32 v16, 12, v44
	v_and_b32_e32 v45, 48, v45
	v_and_or_b32 v16, v16, 15, v45
	v_lshrrev_b32_e32 v45, 2, v55
	v_bfe_u32 v44, v44, 4, 4
	v_and_or_b32 v44, v45, 48, v44
	v_cvt_f32_ubyte0_e32 v45, v44
	v_cvt_f32_ubyte0_e32 v44, v16
	v_lshrrev_b32_e32 v16, v23, v13
	v_lshlrev_b32_e32 v16, 4, v16
	v_lshrrev_b32_e32 v47, 4, v14
	v_and_b32_e32 v16, 16, v16
	v_add_f32_e32 v33, v33, v42
	v_and_b32_e32 v42, 15, v14
	v_and_or_b32 v16, v47, 15, v16
	v_lshrrev_b32_e32 v47, v5, v13
	v_lshrrev_b32_e32 v48, v8, v13
	v_and_or_b32 v42, v46, 16, v42
	v_lshlrev_b32_e32 v48, 4, v48
	v_lshlrev_b32_e32 v47, 4, v47
	v_add_f32_e32 v33, v33, v43
	v_cvt_f32_ubyte0_e32 v43, v42
	v_cvt_f32_ubyte0_e32 v42, v16
	v_lshrrev_b32_e32 v16, 8, v14
	v_lshrrev_b32_e32 v46, 12, v14
	v_and_b32_e32 v47, 16, v47
	v_and_b32_e32 v48, 16, v48
	v_and_or_b32 v46, v46, 15, v48
	v_and_or_b32 v16, v16, 15, v47
	v_pk_mul_f32 v[44:45], v[18:19], v[44:45] op_sel_hi:[0,1]
	v_cvt_f32_ubyte0_e32 v47, v16
	v_cvt_f32_ubyte0_e32 v46, v46
	v_pk_fma_f32 v[46:47], v[20:21], v[46:47], v[44:45] neg_lo:[0,0,1] neg_hi:[0,0,1]
	v_lshrrev_b32_e32 v18, v27, v13
	v_lshrrev_b32_e32 v16, 16, v14
	;; [unrolled: 1-line block ×3, first 2 shown]
	v_pk_fma_f32 v[42:43], v[20:21], v[42:43], v[44:45] neg_lo:[0,0,1] neg_hi:[0,0,1]
	s_waitcnt vmcnt(1)
	v_mov_b32_e32 v48, v34
	s_waitcnt vmcnt(0)
	v_mov_b32_e32 v49, v38
	v_mov_b32_e32 v38, v35
	v_pk_mul_f32 v[34:35], v[46:47], v[38:39]
	v_lshrrev_b32_e32 v39, v7, v13
	v_lshrrev_b32_e32 v13, v10, v13
	v_lshlrev_b32_e32 v13, 4, v13
	v_lshlrev_b32_e32 v39, 4, v39
	v_lshrrev_b32_e32 v38, 20, v14
	v_and_b32_e32 v39, 16, v39
	v_and_b32_e32 v13, 16, v13
	v_and_or_b32 v13, v38, 15, v13
	v_and_or_b32 v16, v16, 15, v39
	v_cvt_f32_ubyte0_e32 v39, v16
	v_cvt_f32_ubyte0_e32 v38, v13
	v_alignbit_b32 v14, v18, v14, 28
	v_pk_fma_f32 v[34:35], v[42:43], v[48:49], v[34:35]
	v_pk_fma_f32 v[38:39], v[20:21], v[38:39], v[44:45] neg_lo:[0,0,1] neg_hi:[0,0,1]
	v_mov_b32_e32 v42, v36
	v_mov_b32_e32 v43, v40
	v_and_or_b32 v13, v50, 15, v51
	v_and_b32_e32 v14, 31, v14
	v_pk_fma_f32 v[34:35], v[38:39], v[42:43], v[34:35]
	v_cvt_f32_ubyte0_e32 v38, v14
	v_cvt_f32_ubyte0_e32 v39, v13
	v_pk_fma_f32 v[20:21], v[20:21], v[38:39], v[44:45] neg_lo:[0,0,1] neg_hi:[0,0,1]
	v_mov_b32_e32 v40, v37
	v_pk_fma_f32 v[20:21], v[20:21], v[40:41], v[34:35]
	v_add_f32_e32 v13, v33, v21
	v_add_f32_e32 v33, v13, v20
	s_andn2_b64 exec, exec, s[2:3]
	s_cbranch_execz .LBB25_26
.LBB25_6:                               ; =>This Inner Loop Header: Depth=1
	v_mov_b32_e32 v13, v15
	v_lshlrev_b64 v[20:21], 2, v[12:13]
	v_add_co_u32_e32 v20, vcc, s0, v20
	v_addc_co_u32_e32 v21, vcc, v31, v21, vcc
	global_load_dword v13, v[20:21], off
	s_waitcnt vmcnt(0)
	v_bfe_u32 v14, v13, 15, 1
	v_bfe_u32 v18, v13, 10, 5
	v_cmp_lt_i32_e32 vcc, 30, v18
	v_lshlrev_b32_e32 v16, 31, v14
	s_and_saveexec_b64 s[8:9], vcc
	s_xor_b64 s[8:9], exec, s[8:9]
; %bb.7:                                ;   in Loop: Header=BB25_6 Depth=1
	v_lshlrev_b32_e32 v14, 31, v14
	v_lshlrev_b32_sdwa v16, v32, v13 dst_sel:DWORD dst_unused:UNUSED_PAD src0_sel:DWORD src1_sel:WORD_0
	v_or3_b32 v16, v14, v16, s24
                                        ; implicit-def: $vgpr18
                                        ; implicit-def: $vgpr14
; %bb.8:                                ;   in Loop: Header=BB25_6 Depth=1
	s_andn2_saveexec_b64 s[8:9], s[8:9]
	s_cbranch_execz .LBB25_16
; %bb.9:                                ;   in Loop: Header=BB25_6 Depth=1
	v_and_b32_e32 v20, 0x3ff, v13
	v_cmp_ne_u32_e32 vcc, 0, v18
	s_and_saveexec_b64 s[10:11], vcc
	s_xor_b64 s[10:11], exec, s[10:11]
; %bb.10:                               ;   in Loop: Header=BB25_6 Depth=1
	v_lshlrev_b32_e32 v14, 31, v14
	v_lshlrev_b32_e32 v16, 23, v18
	;; [unrolled: 1-line block ×3, first 2 shown]
	v_or3_b32 v14, v16, v14, v18
	v_add_u32_e32 v16, 0x38000000, v14
                                        ; implicit-def: $vgpr20
                                        ; implicit-def: $vgpr14
; %bb.11:                               ;   in Loop: Header=BB25_6 Depth=1
	s_andn2_saveexec_b64 s[10:11], s[10:11]
	s_cbranch_execz .LBB25_15
; %bb.12:                               ;   in Loop: Header=BB25_6 Depth=1
	v_cmp_ne_u32_e32 vcc, 0, v20
	s_and_saveexec_b64 s[16:17], vcc
	s_xor_b64 s[16:17], exec, s[16:17]
; %bb.13:                               ;   in Loop: Header=BB25_6 Depth=1
	v_ffbh_u32_e32 v16, v20
	v_xor_b32_e32 v18, 31, v16
	v_sub_u32_e32 v18, 9, v18
	v_lshlrev_b32_e32 v18, v18, v13
	v_lshlrev_b32_e32 v14, 31, v14
	;; [unrolled: 1-line block ×4, first 2 shown]
	v_and_or_b32 v14, v18, s26, v14
	v_sub_u32_e32 v14, v14, v16
	v_add_u32_e32 v16, 0x43000000, v14
; %bb.14:                               ;   in Loop: Header=BB25_6 Depth=1
	s_andn2_saveexec_b64 s[16:17], s[16:17]
	s_or_b64 exec, exec, s[16:17]
.LBB25_15:                              ;   in Loop: Header=BB25_6 Depth=1
	s_or_b64 exec, exec, s[10:11]
.LBB25_16:                              ;   in Loop: Header=BB25_6 Depth=1
	s_or_b64 exec, exec, s[8:9]
	v_bfe_u32 v20, v13, 26, 5
	v_cmp_lt_i32_e32 vcc, 30, v20
                                        ; implicit-def: $vgpr18
	s_and_saveexec_b64 s[8:9], vcc
	s_xor_b64 s[8:9], exec, s[8:9]
; %bb.17:                               ;   in Loop: Header=BB25_6 Depth=1
	v_and_b32_e32 v14, 0x80000000, v13
	v_lshlrev_b32_sdwa v13, v32, v13 dst_sel:DWORD dst_unused:UNUSED_PAD src0_sel:DWORD src1_sel:WORD_1
	v_or3_b32 v18, v13, v14, s24
                                        ; implicit-def: $vgpr13
                                        ; implicit-def: $vgpr20
; %bb.18:                               ;   in Loop: Header=BB25_6 Depth=1
	s_andn2_saveexec_b64 s[8:9], s[8:9]
	s_cbranch_execz .LBB25_5
; %bb.19:                               ;   in Loop: Header=BB25_6 Depth=1
	v_and_b32_sdwa v14, v13, s25 dst_sel:DWORD dst_unused:UNUSED_PAD src0_sel:WORD_1 src1_sel:DWORD
	v_cmp_ne_u32_e32 vcc, 0, v20
                                        ; implicit-def: $vgpr18
	s_and_saveexec_b64 s[10:11], vcc
	s_xor_b64 s[10:11], exec, s[10:11]
; %bb.20:                               ;   in Loop: Header=BB25_6 Depth=1
	v_and_b32_e32 v13, 0x80000000, v13
	v_lshlrev_b32_e32 v18, 23, v20
	v_lshlrev_b32_e32 v14, 13, v14
	v_or3_b32 v13, v18, v13, v14
	v_add_u32_e32 v18, 0x38000000, v13
                                        ; implicit-def: $vgpr13
                                        ; implicit-def: $vgpr14
; %bb.21:                               ;   in Loop: Header=BB25_6 Depth=1
	s_andn2_saveexec_b64 s[10:11], s[10:11]
	s_cbranch_execz .LBB25_4
; %bb.22:                               ;   in Loop: Header=BB25_6 Depth=1
	v_cmp_ne_u32_e32 vcc, 0, v14
                                        ; implicit-def: $vgpr18
	s_and_saveexec_b64 s[16:17], vcc
	s_xor_b64 s[16:17], exec, s[16:17]
; %bb.23:                               ;   in Loop: Header=BB25_6 Depth=1
	v_ffbh_u32_e32 v14, v14
	v_xor_b32_e32 v18, 31, v14
	v_sub_u32_e32 v18, 9, v18
	v_lshlrev_b32_sdwa v18, v18, v13 dst_sel:DWORD dst_unused:UNUSED_PAD src0_sel:DWORD src1_sel:WORD_1
	v_lshlrev_b32_e32 v18, 14, v18
	v_and_b32_e32 v18, 0x7fc000, v18
	v_lshlrev_b32_e32 v14, 23, v14
	v_and_or_b32 v13, v13, s27, v18
	v_sub_u32_e32 v13, v13, v14
	v_add_u32_e32 v18, 0x43000000, v13
                                        ; implicit-def: $vgpr13
; %bb.24:                               ;   in Loop: Header=BB25_6 Depth=1
	s_andn2_saveexec_b64 s[16:17], s[16:17]
	s_cbranch_execz .LBB25_3
; %bb.25:                               ;   in Loop: Header=BB25_6 Depth=1
	v_and_b32_e32 v18, 0x80000000, v13
	s_branch .LBB25_3
.LBB25_26:
	s_or_b64 exec, exec, s[2:3]
.LBB25_27:
	s_or_b64 exec, exec, s[4:5]
	v_mbcnt_lo_u32_b32 v1, -1, 0
	v_mbcnt_hi_u32_b32 v4, -1, v1
	v_and_b32_e32 v6, 63, v4
	v_cmp_gt_u32_e32 vcc, 48, v6
	v_cndmask_b32_e64 v1, 0, 1, vcc
	v_lshlrev_b32_e32 v1, 4, v1
	v_add_lshl_u32 v1, v1, v4, 2
	ds_bpermute_b32 v2, v1, v33
	v_cmp_gt_u32_e32 vcc, 56, v6
	v_cndmask_b32_e64 v3, 0, 1, vcc
	v_lshlrev_b32_e32 v3, 3, v3
	v_cmp_gt_u32_e32 vcc, 60, v6
	s_waitcnt lgkmcnt(0)
	v_add_f32_e32 v5, v33, v2
	v_add_lshl_u32 v2, v3, v4, 2
	ds_bpermute_b32 v3, v2, v5
	v_cndmask_b32_e64 v7, 0, 1, vcc
	v_lshlrev_b32_e32 v7, 2, v7
	v_cmp_gt_u32_e32 vcc, 62, v6
	v_cndmask_b32_e64 v8, 0, 1, vcc
	s_waitcnt lgkmcnt(0)
	v_add_f32_e32 v5, v5, v3
	v_add_lshl_u32 v3, v7, v4, 2
	ds_bpermute_b32 v7, v3, v5
	v_lshlrev_b32_e32 v8, 1, v8
	v_cmp_ne_u32_e32 vcc, 63, v6
	v_addc_co_u32_e32 v6, vcc, 0, v4, vcc
	s_waitcnt lgkmcnt(0)
	v_add_f32_e32 v7, v5, v7
	v_add_lshl_u32 v5, v8, v4, 2
	ds_bpermute_b32 v8, v5, v7
	v_lshlrev_b32_e32 v6, 2, v6
	s_waitcnt lgkmcnt(0)
	v_add_f32_e32 v4, v7, v8
	ds_bpermute_b32 v8, v6, v4
	v_and_b32_e32 v7, 31, v0
	v_cmp_eq_u32_e32 vcc, 0, v7
	s_and_saveexec_b64 s[0:1], vcc
	s_cbranch_execz .LBB25_29
; %bb.28:
	s_waitcnt lgkmcnt(0)
	v_add_f32_e32 v4, v4, v8
	v_lshrrev_b32_e32 v8, 3, v0
	ds_write_b32 v8, v4
.LBB25_29:
	s_or_b64 exec, exec, s[0:1]
	s_add_i32 s7, s7, 31
	s_lshr_b32 s0, s7, 5
	v_cmp_gt_u32_e32 vcc, s0, v0
	v_mov_b32_e32 v4, 0
	s_waitcnt lgkmcnt(0)
	s_barrier
	s_and_saveexec_b64 s[0:1], vcc
	s_cbranch_execz .LBB25_31
; %bb.30:
	v_lshlrev_b32_e32 v4, 2, v7
	ds_read_b32 v4, v4
.LBB25_31:
	s_or_b64 exec, exec, s[0:1]
	v_cmp_gt_u32_e32 vcc, 32, v0
	s_and_saveexec_b64 s[0:1], vcc
	s_cbranch_execz .LBB25_33
; %bb.32:
	s_waitcnt lgkmcnt(0)
	ds_bpermute_b32 v1, v1, v4
	s_waitcnt lgkmcnt(0)
	v_add_f32_e32 v1, v4, v1
	ds_bpermute_b32 v2, v2, v1
	s_waitcnt lgkmcnt(0)
	v_add_f32_e32 v1, v1, v2
	;; [unrolled: 3-line block ×5, first 2 shown]
.LBB25_33:
	s_or_b64 exec, exec, s[0:1]
	s_mov_b32 s1, 0
	v_cmp_eq_u32_e32 vcc, 0, v0
	s_and_saveexec_b64 s[2:3], vcc
	s_cbranch_execz .LBB25_37
; %bb.34:
	s_lshr_b32 s0, s14, 2
	s_add_i32 s0, s0, s6
	s_lshl_b64 s[0:1], s[0:1], 2
	s_add_u32 s0, s12, s0
	s_addc_u32 s1, s13, s1
	s_cmp_eq_u32 s15, 0
	s_cbranch_scc1 .LBB25_36
; %bb.35:
	s_load_dword s2, s[0:1], 0x0
	s_waitcnt lgkmcnt(0)
	v_add_f32_e32 v4, s2, v4
.LBB25_36:
	v_mov_b32_e32 v0, 0
	s_waitcnt lgkmcnt(0)
	global_store_dword v0, v4, s[0:1]
.LBB25_37:
	s_endpgm
	.section	.rodata,"a",@progbits
	.p2align	6, 0x0
	.amdhsa_kernel dmmv_q5k_fast
		.amdhsa_group_segment_fixed_size 128
		.amdhsa_private_segment_fixed_size 0
		.amdhsa_kernarg_size 304
		.amdhsa_user_sgpr_count 6
		.amdhsa_user_sgpr_private_segment_buffer 1
		.amdhsa_user_sgpr_dispatch_ptr 0
		.amdhsa_user_sgpr_queue_ptr 0
		.amdhsa_user_sgpr_kernarg_segment_ptr 1
		.amdhsa_user_sgpr_dispatch_id 0
		.amdhsa_user_sgpr_flat_scratch_init 0
		.amdhsa_user_sgpr_kernarg_preload_length 0
		.amdhsa_user_sgpr_kernarg_preload_offset 0
		.amdhsa_user_sgpr_private_segment_size 0
		.amdhsa_uses_dynamic_stack 0
		.amdhsa_system_sgpr_private_segment_wavefront_offset 0
		.amdhsa_system_sgpr_workgroup_id_x 1
		.amdhsa_system_sgpr_workgroup_id_y 0
		.amdhsa_system_sgpr_workgroup_id_z 0
		.amdhsa_system_sgpr_workgroup_info 0
		.amdhsa_system_vgpr_workitem_id 0
		.amdhsa_next_free_vgpr 56
		.amdhsa_next_free_sgpr 28
		.amdhsa_accum_offset 56
		.amdhsa_reserve_vcc 1
		.amdhsa_reserve_flat_scratch 0
		.amdhsa_float_round_mode_32 0
		.amdhsa_float_round_mode_16_64 0
		.amdhsa_float_denorm_mode_32 3
		.amdhsa_float_denorm_mode_16_64 3
		.amdhsa_dx10_clamp 1
		.amdhsa_ieee_mode 1
		.amdhsa_fp16_overflow 0
		.amdhsa_tg_split 0
		.amdhsa_exception_fp_ieee_invalid_op 0
		.amdhsa_exception_fp_denorm_src 0
		.amdhsa_exception_fp_ieee_div_zero 0
		.amdhsa_exception_fp_ieee_overflow 0
		.amdhsa_exception_fp_ieee_underflow 0
		.amdhsa_exception_fp_ieee_inexact 0
		.amdhsa_exception_int_div_zero 0
	.end_amdhsa_kernel
	.text
.Lfunc_end25:
	.size	dmmv_q5k_fast, .Lfunc_end25-dmmv_q5k_fast
                                        ; -- End function
	.section	.AMDGPU.csdata,"",@progbits
; Kernel info:
; codeLenInByte = 2340
; NumSgprs: 32
; NumVgprs: 56
; NumAgprs: 0
; TotalNumVgprs: 56
; ScratchSize: 0
; MemoryBound: 0
; FloatMode: 240
; IeeeMode: 1
; LDSByteSize: 128 bytes/workgroup (compile time only)
; SGPRBlocks: 3
; VGPRBlocks: 6
; NumSGPRsForWavesPerEU: 32
; NumVGPRsForWavesPerEU: 56
; AccumOffset: 56
; Occupancy: 8
; WaveLimiterHint : 1
; COMPUTE_PGM_RSRC2:SCRATCH_EN: 0
; COMPUTE_PGM_RSRC2:USER_SGPR: 6
; COMPUTE_PGM_RSRC2:TRAP_HANDLER: 0
; COMPUTE_PGM_RSRC2:TGID_X_EN: 1
; COMPUTE_PGM_RSRC2:TGID_Y_EN: 0
; COMPUTE_PGM_RSRC2:TGID_Z_EN: 0
; COMPUTE_PGM_RSRC2:TIDIG_COMP_CNT: 0
; COMPUTE_PGM_RSRC3_GFX90A:ACCUM_OFFSET: 13
; COMPUTE_PGM_RSRC3_GFX90A:TG_SPLIT: 0
	.text
	.protected	dmmv_q4k_experts        ; -- Begin function dmmv_q4k_experts
	.globl	dmmv_q4k_experts
	.p2align	8
	.type	dmmv_q4k_experts,@function
dmmv_q4k_experts:                       ; @dmmv_q4k_experts
; %bb.0:
	s_load_dword s20, s[4:5], 0x20
	s_load_dword s0, s[4:5], 0x30
	s_mov_b32 s17, 0
	s_waitcnt lgkmcnt(0)
	v_cvt_f32_u32_e32 v1, s20
	s_sub_i32 s1, 0, s20
	v_rcp_iflag_f32_e32 v1, v1
	v_mul_f32_e32 v1, 0x4f7ffffe, v1
	v_cvt_u32_f32_e32 v1, v1
	v_readfirstlane_b32 s2, v1
	s_mul_i32 s1, s1, s2
	s_mul_hi_u32 s1, s2, s1
	s_add_i32 s2, s2, s1
	s_mul_hi_u32 s1, s6, s2
	s_mul_i32 s2, s1, s20
	s_sub_i32 s2, s6, s2
	s_add_i32 s3, s1, 1
	s_sub_i32 s7, s2, s20
	s_cmp_ge_u32 s2, s20
	s_cselect_b32 s1, s3, s1
	s_cselect_b32 s2, s7, s2
	s_add_i32 s3, s1, 1
	s_cmp_ge_u32 s2, s20
	s_cselect_b32 s16, s3, s1
	s_cmp_ge_u32 s16, s0
	s_cbranch_scc1 .LBB26_35
; %bb.1:
	s_load_dwordx4 s[0:3], s[4:5], 0x24
	s_load_dwordx8 s[8:15], s[4:5], 0x0
	s_waitcnt lgkmcnt(0)
	s_load_dword s3, s[4:5], 0x44
	s_mul_i32 s7, s16, s20
	v_lshrrev_b32_e32 v19, 4, v0
	s_lshr_b32 s21, s0, 8
	s_sub_i32 s6, s6, s7
	s_waitcnt lgkmcnt(0)
	s_and_b32 s7, s3, 0xffff
	v_cmp_gt_u32_e32 vcc, s21, v19
	v_mov_b32_e32 v31, 0
	s_and_saveexec_b64 s[18:19], vcc
	s_cbranch_execz .LBB26_27
; %bb.2:
	s_lshl_b64 s[22:23], s[16:17], 2
	s_add_u32 s14, s14, s22
	s_addc_u32 s15, s15, s23
	s_load_dword s0, s[14:15], 0x0
	s_load_dword s17, s[4:5], 0x34
	s_mul_hi_u32 s3, s2, s16
	s_mul_i32 s2, s2, s16
	v_bfe_u32 v1, v0, 3, 1
	s_waitcnt lgkmcnt(0)
	s_mul_i32 s0, s0, s1
	s_add_i32 s0, s0, s17
	s_lshl_b64 s[2:3], s[2:3], 2
	s_lshr_b32 s0, s0, 2
	v_lshlrev_b32_e32 v3, 3, v0
	v_lshlrev_b32_e32 v4, 6, v1
	s_mul_i32 s1, s21, s6
	s_add_u32 s14, s10, s2
	v_and_b32_e32 v2, 4, v0
	v_and_b32_e32 v3, 24, v3
	v_lshlrev_b32_e32 v5, 5, v1
	v_lshl_or_b32 v4, v19, 8, v4
	s_mul_i32 s1, s1, 36
	s_addc_u32 s2, s11, s3
	v_lshlrev_b32_e32 v18, 4, v1
	s_lshr_b32 s15, s7, 4
	v_or3_b32 v25, v4, v3, v2
	v_or3_b32 v2, v5, v3, v2
	s_add_i32 s0, s0, s1
	v_mov_b32_e32 v1, v18
	s_lshl_b32 s17, s15, 8
	v_lshrrev_b32_e32 v27, 2, v2
	v_mad_u32_u24 v20, v19, 36, s0
	s_mul_i32 s22, s15, 36
	s_mov_b64 s[0:1], 0
	v_mov_b32_e32 v23, 0
	v_mov_b32_e32 v28, s9
	s_mov_b32 s9, 0x7f800000
	s_movk_i32 s23, 0x3ff
	s_mov_b32 s24, 0x7fc000
	s_brev_b32 s25, 1
	v_mov_b32_e32 v29, s2
	v_mov_b32_e32 v30, 13
	;; [unrolled: 1-line block ×3, first 2 shown]
	s_branch .LBB26_6
.LBB26_3:                               ;   in Loop: Header=BB26_6 Depth=1
	s_or_b64 exec, exec, s[10:11]
.LBB26_4:                               ;   in Loop: Header=BB26_6 Depth=1
	s_or_b64 exec, exec, s[4:5]
.LBB26_5:                               ;   in Loop: Header=BB26_6 Depth=1
	s_or_b64 exec, exec, s[2:3]
	v_add_u32_e32 v22, 1, v20
	v_lshlrev_b64 v[2:3], 2, v[22:23]
	v_add_co_u32_e32 v2, vcc, s8, v2
	v_add_u32_e32 v22, 2, v20
	v_addc_co_u32_e32 v3, vcc, v28, v3, vcc
	v_lshlrev_b64 v[4:5], 2, v[22:23]
	v_add_co_u32_e32 v4, vcc, s8, v4
	v_add_u32_e32 v22, 3, v20
	v_addc_co_u32_e32 v5, vcc, v28, v5, vcc
	global_load_dword v21, v[2:3], off
	global_load_dword v34, v[4:5], off
	v_lshlrev_b64 v[2:3], 2, v[22:23]
	v_add_co_u32_e32 v2, vcc, s8, v2
	v_add_u32_e32 v4, v27, v20
	v_addc_co_u32_e32 v3, vcc, v28, v3, vcc
	v_add_u32_e32 v22, 4, v4
	global_load_dword v35, v[2:3], off
	v_lshlrev_b64 v[2:3], 2, v[22:23]
	v_add_co_u32_e32 v2, vcc, s8, v2
	v_addc_co_u32_e32 v3, vcc, v28, v3, vcc
	v_add_u32_e32 v22, 20, v4
	global_load_dword v36, v[2:3], off
	v_lshlrev_b64 v[2:3], 2, v[22:23]
	v_add_co_u32_e32 v2, vcc, s8, v2
	v_addc_co_u32_e32 v3, vcc, v28, v3, vcc
	v_lshrrev_b32_e32 v22, 2, v25
	global_load_dword v50, v[2:3], off
	v_lshlrev_b64 v[2:3], 4, v[22:23]
	v_add_co_u32_e32 v32, vcc, s14, v2
	v_addc_co_u32_e32 v33, vcc, v29, v3, vcc
	global_load_dwordx4 v[10:13], v[32:33], off
	global_load_dwordx4 v[14:17], v[32:33], off offset:128
	global_load_dwordx4 v[6:9], v[32:33], off offset:640
	;; [unrolled: 1-line block ×3, first 2 shown]
	v_add_u32_e32 v19, s15, v19
	v_cmp_le_u32_e32 vcc, s21, v19
	s_or_b64 s[0:1], vcc, s[0:1]
	v_add_u32_e32 v20, s22, v20
	s_waitcnt vmcnt(8)
	v_lshrrev_b32_e32 v22, v1, v21
	v_bfe_u32 v21, v21, v1, 6
	v_lshrrev_b32_e32 v37, 2, v22
	v_lshrrev_b32_e32 v33, 10, v22
	s_waitcnt vmcnt(7)
	v_lshrrev_b32_e32 v38, v18, v34
	v_bfe_u32 v22, v22, 8, 6
	v_cvt_f32_ubyte0_e32 v32, v21
	v_bfe_u32 v34, v34, v18, 6
	v_and_b32_e32 v39, 48, v33
	s_waitcnt vmcnt(6)
	v_lshrrev_b32_e32 v21, v18, v35
	v_bfe_u32 v35, v35, v18, 4
	v_bfe_u32 v40, v38, 8, 6
	v_cvt_f32_ubyte0_e32 v33, v22
	v_lshrrev_b32_e32 v22, 2, v38
	v_lshrrev_b32_e32 v46, 10, v38
	;; [unrolled: 1-line block ×3, first 2 shown]
	v_cvt_f32_ubyte0_e32 v34, v34
	s_waitcnt vmcnt(5)
	v_bfe_u32 v44, v36, 24, 4
	v_lshrrev_b32_e32 v45, 28, v36
	v_and_or_b32 v37, v37, 48, v35
	v_cvt_f32_ubyte0_e32 v35, v40
	v_and_b32_e32 v40, 15, v36
	v_bfe_u32 v41, v36, 4, 4
	v_bfe_u32 v42, v36, 8, 4
	;; [unrolled: 1-line block ×5, first 2 shown]
	v_and_or_b32 v49, v38, 15, v39
	v_pk_mul_f32 v[32:33], v[24:25], v[32:33] op_sel_hi:[0,1]
	v_cvt_f32_ubyte0_e32 v37, v37
	v_pk_mul_f32 v[34:35], v[26:27], v[34:35] op_sel_hi:[0,1]
	v_cvt_f32_ubyte0_e32 v39, v41
	v_cvt_f32_ubyte0_e32 v38, v40
	;; [unrolled: 1-line block ×6, first 2 shown]
	v_lshrrev_b32_e32 v48, 12, v21
	v_pk_mul_f32 v[36:37], v[24:25], v[36:37] op_sel_hi:[0,1]
	v_and_b32_e32 v24, 48, v46
	s_waitcnt vmcnt(2)
	v_mov_b32_e32 v49, v14
	v_pk_fma_f32 v[40:41], v[32:33], v[40:41], v[34:35] neg_lo:[0,0,1] neg_hi:[0,0,1]
	v_mov_b32_e32 v14, v11
	v_cvt_f32_ubyte0_e32 v42, v47
	v_and_or_b32 v24, v48, 15, v24
	v_pk_fma_f32 v[38:39], v[32:33], v[38:39], v[34:35] neg_lo:[0,0,1] neg_hi:[0,0,1]
	v_mov_b32_e32 v48, v10
	v_pk_mul_f32 v[10:11], v[14:15], v[40:41]
	v_cvt_f32_ubyte0_e32 v45, v45
	v_cvt_f32_ubyte0_e32 v44, v44
	v_pk_fma_f32 v[10:11], v[48:49], v[38:39], v[10:11]
	v_pk_fma_f32 v[14:15], v[32:33], v[42:43], v[34:35] neg_lo:[0,0,1] neg_hi:[0,0,1]
	v_mov_b32_e32 v38, v12
	v_mov_b32_e32 v39, v16
	v_bfe_u32 v21, v21, 4, 4
	v_pk_fma_f32 v[10:11], v[38:39], v[14:15], v[10:11]
	v_pk_fma_f32 v[14:15], v[32:33], v[44:45], v[34:35] neg_lo:[0,0,1] neg_hi:[0,0,1]
	v_mov_b32_e32 v16, v13
	v_and_or_b32 v21, v22, 48, v21
	v_pk_fma_f32 v[10:11], v[14:15], v[16:17], v[10:11]
	v_cvt_f32_ubyte0_e32 v47, v21
	v_cvt_f32_ubyte0_e32 v46, v24
	v_add_f32_e32 v10, v31, v10
	s_waitcnt vmcnt(1)
	v_mov_b32_e32 v12, v6
	s_waitcnt vmcnt(0)
	v_mov_b32_e32 v13, v2
	v_bfe_u32 v2, v50, 12, 4
	v_bfe_u32 v6, v50, 8, 4
	v_pk_mul_f32 v[46:47], v[26:27], v[46:47] op_sel_hi:[0,1]
	v_add_f32_e32 v16, v10, v11
	v_bfe_u32 v10, v50, 4, 4
	v_and_b32_e32 v11, 15, v50
	v_cvt_f32_ubyte0_e32 v15, v6
	v_cvt_f32_ubyte0_e32 v14, v2
	;; [unrolled: 1-line block ×4, first 2 shown]
	v_pk_fma_f32 v[14:15], v[36:37], v[14:15], v[46:47] neg_lo:[0,0,1] neg_hi:[0,0,1]
	v_mov_b32_e32 v2, v7
	v_bfe_u32 v6, v50, 20, 4
	v_bfe_u32 v7, v50, 16, 4
	v_pk_fma_f32 v[10:11], v[36:37], v[10:11], v[46:47] neg_lo:[0,0,1] neg_hi:[0,0,1]
	v_pk_mul_f32 v[2:3], v[14:15], v[2:3]
	v_cvt_f32_ubyte0_e32 v7, v7
	v_cvt_f32_ubyte0_e32 v6, v6
	v_bfe_u32 v51, v50, 24, 4
	v_lshrrev_b32_e32 v52, 28, v50
	v_pk_fma_f32 v[2:3], v[10:11], v[12:13], v[2:3]
	v_pk_fma_f32 v[6:7], v[36:37], v[6:7], v[46:47] neg_lo:[0,0,1] neg_hi:[0,0,1]
	v_mov_b32_e32 v10, v8
	v_mov_b32_e32 v11, v4
	v_pk_fma_f32 v[2:3], v[6:7], v[10:11], v[2:3]
	v_cvt_f32_ubyte0_e32 v7, v51
	v_cvt_f32_ubyte0_e32 v6, v52
	v_pk_fma_f32 v[6:7], v[36:37], v[6:7], v[46:47] neg_lo:[0,0,1] neg_hi:[0,0,1]
	v_mov_b32_e32 v4, v9
	v_pk_fma_f32 v[2:3], v[6:7], v[4:5], v[2:3]
	v_add_f32_e32 v3, v16, v3
	v_add_f32_e32 v31, v3, v2
	v_add_u32_e32 v25, s17, v25
	s_andn2_b64 exec, exec, s[0:1]
	s_cbranch_execz .LBB26_26
.LBB26_6:                               ; =>This Inner Loop Header: Depth=1
	v_mov_b32_e32 v21, v23
	v_lshlrev_b64 v[2:3], 2, v[20:21]
	v_add_co_u32_e32 v2, vcc, s8, v2
	v_addc_co_u32_e32 v3, vcc, v28, v3, vcc
	global_load_dword v2, v[2:3], off
	s_waitcnt vmcnt(0)
	v_bfe_u32 v3, v2, 15, 1
	v_bfe_u32 v4, v2, 10, 5
	v_cmp_lt_i32_e32 vcc, 30, v4
	v_lshlrev_b32_e32 v24, 31, v3
	s_and_saveexec_b64 s[2:3], vcc
	s_xor_b64 s[2:3], exec, s[2:3]
; %bb.7:                                ;   in Loop: Header=BB26_6 Depth=1
	v_lshlrev_b32_e32 v3, 31, v3
	v_lshlrev_b32_sdwa v4, v30, v2 dst_sel:DWORD dst_unused:UNUSED_PAD src0_sel:DWORD src1_sel:WORD_0
	v_or3_b32 v24, v3, v4, s9
                                        ; implicit-def: $vgpr4
                                        ; implicit-def: $vgpr3
; %bb.8:                                ;   in Loop: Header=BB26_6 Depth=1
	s_andn2_saveexec_b64 s[2:3], s[2:3]
	s_cbranch_execz .LBB26_16
; %bb.9:                                ;   in Loop: Header=BB26_6 Depth=1
	v_and_b32_e32 v5, 0x3ff, v2
	v_cmp_ne_u32_e32 vcc, 0, v4
	s_and_saveexec_b64 s[4:5], vcc
	s_xor_b64 s[4:5], exec, s[4:5]
; %bb.10:                               ;   in Loop: Header=BB26_6 Depth=1
	v_lshlrev_b32_e32 v3, 31, v3
	v_lshlrev_b32_e32 v4, 23, v4
	;; [unrolled: 1-line block ×3, first 2 shown]
	v_or3_b32 v3, v4, v3, v5
	v_add_u32_e32 v24, 0x38000000, v3
                                        ; implicit-def: $vgpr5
                                        ; implicit-def: $vgpr3
; %bb.11:                               ;   in Loop: Header=BB26_6 Depth=1
	s_andn2_saveexec_b64 s[4:5], s[4:5]
	s_cbranch_execz .LBB26_15
; %bb.12:                               ;   in Loop: Header=BB26_6 Depth=1
	v_cmp_ne_u32_e32 vcc, 0, v5
	s_and_saveexec_b64 s[10:11], vcc
	s_xor_b64 s[10:11], exec, s[10:11]
; %bb.13:                               ;   in Loop: Header=BB26_6 Depth=1
	v_ffbh_u32_e32 v4, v5
	v_xor_b32_e32 v5, 31, v4
	v_sub_u32_e32 v5, 9, v5
	v_lshlrev_b32_e32 v5, v5, v2
	v_lshlrev_b32_e32 v3, 31, v3
	;; [unrolled: 1-line block ×4, first 2 shown]
	v_and_or_b32 v3, v5, s24, v3
	v_sub_u32_e32 v3, v3, v4
	v_add_u32_e32 v24, 0x43000000, v3
; %bb.14:                               ;   in Loop: Header=BB26_6 Depth=1
	s_andn2_saveexec_b64 s[10:11], s[10:11]
	s_or_b64 exec, exec, s[10:11]
.LBB26_15:                              ;   in Loop: Header=BB26_6 Depth=1
	s_or_b64 exec, exec, s[4:5]
.LBB26_16:                              ;   in Loop: Header=BB26_6 Depth=1
	s_or_b64 exec, exec, s[2:3]
	v_bfe_u32 v4, v2, 26, 5
	v_cmp_lt_i32_e32 vcc, 30, v4
                                        ; implicit-def: $vgpr26
	s_and_saveexec_b64 s[2:3], vcc
	s_xor_b64 s[2:3], exec, s[2:3]
; %bb.17:                               ;   in Loop: Header=BB26_6 Depth=1
	v_and_b32_e32 v3, 0x80000000, v2
	v_lshlrev_b32_sdwa v2, v30, v2 dst_sel:DWORD dst_unused:UNUSED_PAD src0_sel:DWORD src1_sel:WORD_1
	v_or3_b32 v26, v2, v3, s9
                                        ; implicit-def: $vgpr2
                                        ; implicit-def: $vgpr4
; %bb.18:                               ;   in Loop: Header=BB26_6 Depth=1
	s_andn2_saveexec_b64 s[2:3], s[2:3]
	s_cbranch_execz .LBB26_5
; %bb.19:                               ;   in Loop: Header=BB26_6 Depth=1
	v_and_b32_sdwa v3, v2, s23 dst_sel:DWORD dst_unused:UNUSED_PAD src0_sel:WORD_1 src1_sel:DWORD
	v_cmp_ne_u32_e32 vcc, 0, v4
                                        ; implicit-def: $vgpr26
	s_and_saveexec_b64 s[4:5], vcc
	s_xor_b64 s[4:5], exec, s[4:5]
; %bb.20:                               ;   in Loop: Header=BB26_6 Depth=1
	v_and_b32_e32 v2, 0x80000000, v2
	v_lshlrev_b32_e32 v4, 23, v4
	v_lshlrev_b32_e32 v3, 13, v3
	v_or3_b32 v2, v4, v2, v3
	v_add_u32_e32 v26, 0x38000000, v2
                                        ; implicit-def: $vgpr2
                                        ; implicit-def: $vgpr3
; %bb.21:                               ;   in Loop: Header=BB26_6 Depth=1
	s_andn2_saveexec_b64 s[4:5], s[4:5]
	s_cbranch_execz .LBB26_4
; %bb.22:                               ;   in Loop: Header=BB26_6 Depth=1
	v_cmp_ne_u32_e32 vcc, 0, v3
                                        ; implicit-def: $vgpr26
	s_and_saveexec_b64 s[10:11], vcc
	s_xor_b64 s[10:11], exec, s[10:11]
; %bb.23:                               ;   in Loop: Header=BB26_6 Depth=1
	v_ffbh_u32_e32 v3, v3
	v_xor_b32_e32 v4, 31, v3
	v_sub_u32_e32 v4, 9, v4
	v_lshlrev_b32_sdwa v4, v4, v2 dst_sel:DWORD dst_unused:UNUSED_PAD src0_sel:DWORD src1_sel:WORD_1
	v_lshlrev_b32_e32 v4, 14, v4
	v_and_b32_e32 v4, 0x7fc000, v4
	v_lshlrev_b32_e32 v3, 23, v3
	v_and_or_b32 v2, v2, s25, v4
	v_sub_u32_e32 v2, v2, v3
	v_add_u32_e32 v26, 0x43000000, v2
                                        ; implicit-def: $vgpr2
; %bb.24:                               ;   in Loop: Header=BB26_6 Depth=1
	s_andn2_saveexec_b64 s[10:11], s[10:11]
	s_cbranch_execz .LBB26_3
; %bb.25:                               ;   in Loop: Header=BB26_6 Depth=1
	v_and_b32_e32 v26, 0x80000000, v2
	s_branch .LBB26_3
.LBB26_26:
	s_or_b64 exec, exec, s[0:1]
.LBB26_27:
	s_or_b64 exec, exec, s[18:19]
	v_mbcnt_lo_u32_b32 v1, -1, 0
	v_mbcnt_hi_u32_b32 v5, -1, v1
	v_and_b32_e32 v6, 63, v5
	v_cmp_gt_u32_e32 vcc, 48, v6
	v_cndmask_b32_e64 v1, 0, 1, vcc
	v_lshlrev_b32_e32 v1, 4, v1
	v_add_lshl_u32 v1, v1, v5, 2
	ds_bpermute_b32 v2, v1, v31
	v_cmp_gt_u32_e32 vcc, 56, v6
	v_cndmask_b32_e64 v3, 0, 1, vcc
	v_lshlrev_b32_e32 v3, 3, v3
	v_cmp_gt_u32_e32 vcc, 60, v6
	s_waitcnt lgkmcnt(0)
	v_add_f32_e32 v4, v31, v2
	v_add_lshl_u32 v2, v3, v5, 2
	ds_bpermute_b32 v3, v2, v4
	v_cndmask_b32_e64 v7, 0, 1, vcc
	v_lshlrev_b32_e32 v7, 2, v7
	v_cmp_gt_u32_e32 vcc, 62, v6
	v_cndmask_b32_e64 v8, 0, 1, vcc
	s_waitcnt lgkmcnt(0)
	v_add_f32_e32 v4, v4, v3
	v_add_lshl_u32 v3, v7, v5, 2
	ds_bpermute_b32 v7, v3, v4
	v_lshlrev_b32_e32 v8, 1, v8
	v_cmp_ne_u32_e32 vcc, 63, v6
	s_waitcnt lgkmcnt(0)
	v_add_f32_e32 v7, v4, v7
	v_add_lshl_u32 v4, v8, v5, 2
	ds_bpermute_b32 v8, v4, v7
	v_addc_co_u32_e32 v5, vcc, 0, v5, vcc
	v_lshlrev_b32_e32 v5, 2, v5
	s_waitcnt lgkmcnt(0)
	v_add_f32_e32 v6, v7, v8
	ds_bpermute_b32 v8, v5, v6
	v_and_b32_e32 v7, 31, v0
	v_cmp_eq_u32_e32 vcc, 0, v7
	s_and_saveexec_b64 s[0:1], vcc
	s_cbranch_execz .LBB26_29
; %bb.28:
	s_waitcnt lgkmcnt(0)
	v_add_f32_e32 v6, v6, v8
	v_lshrrev_b32_e32 v8, 3, v0
	ds_write_b32 v8, v6
.LBB26_29:
	s_or_b64 exec, exec, s[0:1]
	s_add_i32 s7, s7, 31
	s_lshr_b32 s0, s7, 5
	v_cmp_gt_u32_e32 vcc, s0, v0
	v_mov_b32_e32 v6, 0
	s_waitcnt lgkmcnt(0)
	s_barrier
	s_and_saveexec_b64 s[0:1], vcc
	s_cbranch_execz .LBB26_31
; %bb.30:
	v_lshlrev_b32_e32 v6, 2, v7
	ds_read_b32 v6, v6
.LBB26_31:
	s_or_b64 exec, exec, s[0:1]
	v_cmp_gt_u32_e32 vcc, 32, v0
	s_and_saveexec_b64 s[0:1], vcc
	s_cbranch_execz .LBB26_33
; %bb.32:
	s_waitcnt lgkmcnt(0)
	ds_bpermute_b32 v1, v1, v6
	s_waitcnt lgkmcnt(0)
	v_add_f32_e32 v1, v6, v1
	ds_bpermute_b32 v2, v2, v1
	s_waitcnt lgkmcnt(0)
	v_add_f32_e32 v1, v1, v2
	;; [unrolled: 3-line block ×5, first 2 shown]
.LBB26_33:
	s_or_b64 exec, exec, s[0:1]
	s_mov_b32 s7, 0
	v_cmp_eq_u32_e32 vcc, 0, v0
	s_and_saveexec_b64 s[0:1], vcc
	s_cbranch_execz .LBB26_35
; %bb.34:
	s_mul_hi_u32 s1, s16, s20
	s_mul_i32 s0, s16, s20
	s_lshl_b64 s[0:1], s[0:1], 2
	s_add_u32 s2, s12, s0
	s_addc_u32 s3, s13, s1
	s_lshl_b64 s[0:1], s[6:7], 2
	s_add_u32 s0, s2, s0
	s_addc_u32 s1, s3, s1
	v_mov_b32_e32 v0, 0
	s_waitcnt lgkmcnt(0)
	global_store_dword v0, v6, s[0:1]
.LBB26_35:
	s_endpgm
	.section	.rodata,"a",@progbits
	.p2align	6, 0x0
	.amdhsa_kernel dmmv_q4k_experts
		.amdhsa_group_segment_fixed_size 128
		.amdhsa_private_segment_fixed_size 0
		.amdhsa_kernarg_size 312
		.amdhsa_user_sgpr_count 6
		.amdhsa_user_sgpr_private_segment_buffer 1
		.amdhsa_user_sgpr_dispatch_ptr 0
		.amdhsa_user_sgpr_queue_ptr 0
		.amdhsa_user_sgpr_kernarg_segment_ptr 1
		.amdhsa_user_sgpr_dispatch_id 0
		.amdhsa_user_sgpr_flat_scratch_init 0
		.amdhsa_user_sgpr_kernarg_preload_length 0
		.amdhsa_user_sgpr_kernarg_preload_offset 0
		.amdhsa_user_sgpr_private_segment_size 0
		.amdhsa_uses_dynamic_stack 0
		.amdhsa_system_sgpr_private_segment_wavefront_offset 0
		.amdhsa_system_sgpr_workgroup_id_x 1
		.amdhsa_system_sgpr_workgroup_id_y 0
		.amdhsa_system_sgpr_workgroup_id_z 0
		.amdhsa_system_sgpr_workgroup_info 0
		.amdhsa_system_vgpr_workitem_id 0
		.amdhsa_next_free_vgpr 53
		.amdhsa_next_free_sgpr 26
		.amdhsa_accum_offset 56
		.amdhsa_reserve_vcc 1
		.amdhsa_reserve_flat_scratch 0
		.amdhsa_float_round_mode_32 0
		.amdhsa_float_round_mode_16_64 0
		.amdhsa_float_denorm_mode_32 3
		.amdhsa_float_denorm_mode_16_64 3
		.amdhsa_dx10_clamp 1
		.amdhsa_ieee_mode 1
		.amdhsa_fp16_overflow 0
		.amdhsa_tg_split 0
		.amdhsa_exception_fp_ieee_invalid_op 0
		.amdhsa_exception_fp_denorm_src 0
		.amdhsa_exception_fp_ieee_div_zero 0
		.amdhsa_exception_fp_ieee_overflow 0
		.amdhsa_exception_fp_ieee_underflow 0
		.amdhsa_exception_fp_ieee_inexact 0
		.amdhsa_exception_int_div_zero 0
	.end_amdhsa_kernel
	.text
.Lfunc_end26:
	.size	dmmv_q4k_experts, .Lfunc_end26-dmmv_q4k_experts
                                        ; -- End function
	.section	.AMDGPU.csdata,"",@progbits
; Kernel info:
; codeLenInByte = 2108
; NumSgprs: 30
; NumVgprs: 53
; NumAgprs: 0
; TotalNumVgprs: 53
; ScratchSize: 0
; MemoryBound: 0
; FloatMode: 240
; IeeeMode: 1
; LDSByteSize: 128 bytes/workgroup (compile time only)
; SGPRBlocks: 3
; VGPRBlocks: 6
; NumSGPRsForWavesPerEU: 30
; NumVGPRsForWavesPerEU: 53
; AccumOffset: 56
; Occupancy: 8
; WaveLimiterHint : 1
; COMPUTE_PGM_RSRC2:SCRATCH_EN: 0
; COMPUTE_PGM_RSRC2:USER_SGPR: 6
; COMPUTE_PGM_RSRC2:TRAP_HANDLER: 0
; COMPUTE_PGM_RSRC2:TGID_X_EN: 1
; COMPUTE_PGM_RSRC2:TGID_Y_EN: 0
; COMPUTE_PGM_RSRC2:TGID_Z_EN: 0
; COMPUTE_PGM_RSRC2:TIDIG_COMP_CNT: 0
; COMPUTE_PGM_RSRC3_GFX90A:ACCUM_OFFSET: 13
; COMPUTE_PGM_RSRC3_GFX90A:TG_SPLIT: 0
	.text
	.protected	dmmv_q5k_experts        ; -- Begin function dmmv_q5k_experts
	.globl	dmmv_q5k_experts
	.p2align	8
	.type	dmmv_q5k_experts,@function
dmmv_q5k_experts:                       ; @dmmv_q5k_experts
; %bb.0:
	s_load_dword s18, s[4:5], 0x20
	s_load_dword s0, s[4:5], 0x30
	s_mov_b32 s17, 0
	s_waitcnt lgkmcnt(0)
	v_cvt_f32_u32_e32 v1, s18
	s_sub_i32 s1, 0, s18
	v_rcp_iflag_f32_e32 v1, v1
	v_mul_f32_e32 v1, 0x4f7ffffe, v1
	v_cvt_u32_f32_e32 v1, v1
	v_readfirstlane_b32 s2, v1
	s_mul_i32 s1, s1, s2
	s_mul_hi_u32 s1, s2, s1
	s_add_i32 s2, s2, s1
	s_mul_hi_u32 s1, s6, s2
	s_mul_i32 s2, s1, s18
	s_sub_i32 s2, s6, s2
	s_add_i32 s3, s1, 1
	s_sub_i32 s7, s2, s18
	s_cmp_ge_u32 s2, s18
	s_cselect_b32 s1, s3, s1
	s_cselect_b32 s2, s7, s2
	s_add_i32 s3, s1, 1
	s_cmp_ge_u32 s2, s18
	s_cselect_b32 s16, s3, s1
	s_cmp_ge_u32 s16, s0
	s_cbranch_scc1 .LBB27_35
; %bb.1:
	s_load_dwordx4 s[0:3], s[4:5], 0x24
	s_load_dwordx8 s[8:15], s[4:5], 0x0
	s_waitcnt lgkmcnt(0)
	s_load_dword s3, s[4:5], 0x44
                                        ; kill: killed $sgpr4_sgpr5
	s_mul_i32 s4, s16, s18
	v_lshrrev_b32_e32 v11, 4, v0
	s_lshr_b32 s19, s0, 8
	s_sub_i32 s4, s6, s4
	s_waitcnt lgkmcnt(0)
	s_and_b32 s5, s3, 0xffff
	v_cmp_gt_u32_e32 vcc, s19, v11
	v_mov_b32_e32 v33, 0
	s_and_saveexec_b64 s[6:7], vcc
	s_cbranch_execz .LBB27_27
; %bb.2:
	s_lshl_b64 s[20:21], s[16:17], 2
	s_add_u32 s14, s14, s20
	s_addc_u32 s15, s15, s21
	s_load_dword s0, s[14:15], 0x0
	s_mul_hi_u32 s3, s2, s16
	s_mul_i32 s2, s2, s16
	v_bfe_u32 v12, v0, 3, 1
	s_lshl_b64 s[2:3], s[2:3], 2
	s_waitcnt lgkmcnt(0)
	s_mul_i32 s0, s0, s1
	s_lshr_b32 s0, s0, 2
	v_and_b32_e32 v13, 4, v0
	v_lshlrev_b32_e32 v14, 3, v0
	s_mul_i32 s1, s19, s4
	s_add_u32 s17, s10, s2
	v_lshlrev_b32_e32 v15, 6, v12
	v_lshlrev_b32_e32 v16, 8, v11
	v_and_or_b32 v13, v14, 24, v13
	s_mul_i32 s1, s1, 44
	s_addc_u32 s20, s11, s3
	v_lshlrev_b32_e32 v2, 4, v12
	s_lshr_b32 s21, s5, 4
	v_lshlrev_b32_e32 v17, 1, v12
	v_or3_b32 v28, v16, v15, v13
	v_lshl_or_b32 v12, v12, 5, v13
	s_add_i32 s0, s0, s1
	v_lshrrev_b32_e32 v13, 2, v13
	v_or_b32_e32 v19, 1, v17
	v_or_b32_e32 v22, 4, v17
	;; [unrolled: 1-line block ×15, first 2 shown]
	v_mov_b32_e32 v9, v2
	s_lshl_b32 s22, s21, 8
	v_lshrrev_b32_e32 v29, 2, v12
	v_mad_u32_u24 v12, v11, 44, s0
	s_mul_i32 s23, s21, 44
	v_add_u32_e32 v30, 4, v13
	s_mov_b64 s[0:1], 0
	v_mov_b32_e32 v15, 0
	v_mov_b32_e32 v31, s9
	s_mov_b32 s24, 0x7f800000
	s_movk_i32 s25, 0x3ff
	s_mov_b32 s26, 0x7fc000
	s_brev_b32 s27, 1
	v_mov_b32_e32 v32, 13
	v_mov_b32_e32 v33, 0
	s_branch .LBB27_6
.LBB27_3:                               ;   in Loop: Header=BB27_6 Depth=1
	s_or_b64 exec, exec, s[14:15]
.LBB27_4:                               ;   in Loop: Header=BB27_6 Depth=1
	s_or_b64 exec, exec, s[10:11]
.LBB27_5:                               ;   in Loop: Header=BB27_6 Depth=1
	s_or_b64 exec, exec, s[2:3]
	v_add_u32_e32 v14, 1, v12
	v_lshlrev_b64 v[20:21], 2, v[14:15]
	v_mov_b32_e32 v36, s9
	v_add_co_u32_e32 v20, vcc, s8, v20
	v_add_u32_e32 v14, 2, v12
	v_addc_co_u32_e32 v21, vcc, v36, v21, vcc
	v_lshlrev_b64 v[34:35], 2, v[14:15]
	v_add_co_u32_e32 v34, vcc, s8, v34
	v_add_u32_e32 v14, 3, v12
	v_addc_co_u32_e32 v35, vcc, v36, v35, vcc
	global_load_dword v37, v[20:21], off
	global_load_dword v38, v[34:35], off
	v_lshlrev_b64 v[20:21], 2, v[14:15]
	v_add_u32_e32 v14, v30, v12
	v_lshlrev_b64 v[34:35], 2, v[14:15]
	v_add_co_u32_e32 v34, vcc, s8, v34
	v_add_u32_e32 v39, v29, v12
	v_addc_co_u32_e32 v35, vcc, v36, v35, vcc
	v_add_u32_e32 v14, 12, v39
	global_load_dword v13, v[34:35], off
	v_lshlrev_b64 v[34:35], 2, v[14:15]
	v_add_co_u32_e32 v34, vcc, s8, v34
	v_addc_co_u32_e32 v35, vcc, v36, v35, vcc
	global_load_dword v52, v[34:35], off
	v_add_co_u32_e32 v20, vcc, s8, v20
	v_addc_co_u32_e32 v21, vcc, v36, v21, vcc
	global_load_dword v53, v[20:21], off
	v_add_u32_e32 v14, 28, v39
	v_lshlrev_b64 v[20:21], 2, v[14:15]
	v_lshrrev_b32_e32 v14, 2, v28
	v_add_co_u32_e32 v20, vcc, s8, v20
	v_addc_co_u32_e32 v21, vcc, v36, v21, vcc
	v_lshlrev_b64 v[34:35], 4, v[14:15]
	v_mov_b32_e32 v40, s20
	global_load_dword v14, v[20:21], off
	v_add_co_u32_e32 v20, vcc, s17, v34
	v_addc_co_u32_e32 v21, vcc, v40, v35, vcc
	v_add_u32_e32 v11, s21, v11
	v_cmp_le_u32_e32 vcc, s19, v11
	v_add_u32_e32 v28, s22, v28
	s_or_b64 s[0:1], vcc, s[0:1]
	v_add_u32_e32 v12, s23, v12
	s_waitcnt vmcnt(5)
	v_lshrrev_b32_e32 v54, v9, v37
	s_waitcnt vmcnt(4)
	v_lshrrev_b32_e32 v55, v2, v38
	v_bfe_u32 v34, v37, v9, 6
	v_bfe_u32 v35, v38, v2, 6
	;; [unrolled: 1-line block ×4, first 2 shown]
	v_cvt_f32_ubyte0_e32 v34, v34
	v_cvt_f32_ubyte0_e32 v36, v35
	;; [unrolled: 1-line block ×4, first 2 shown]
	v_pk_mul_f32 v[42:43], v[16:17], v[34:35] op_sel_hi:[0,1]
	s_waitcnt vmcnt(3)
	v_lshrrev_b32_e32 v39, v17, v13
	v_lshrrev_b32_e32 v40, v19, v13
	;; [unrolled: 1-line block ×4, first 2 shown]
	v_lshlrev_b32_e32 v34, 4, v39
	v_lshlrev_b32_e32 v39, 4, v40
	v_pk_mul_f32 v[44:45], v[18:19], v[36:37] op_sel_hi:[0,1]
	s_waitcnt vmcnt(2)
	v_and_b32_e32 v36, 15, v52
	v_lshlrev_b32_e32 v40, 4, v41
	v_lshlrev_b32_e32 v38, 4, v38
	v_lshrrev_b32_e32 v35, 4, v52
	v_lshrrev_b32_e32 v37, 12, v52
	v_and_or_b32 v34, v34, 16, v36
	v_lshrrev_b32_e32 v36, 8, v52
	v_and_b32_e32 v39, 16, v39
	v_and_b32_e32 v38, 16, v38
	;; [unrolled: 1-line block ×3, first 2 shown]
	v_and_or_b32 v35, v35, 15, v39
	v_cvt_f32_ubyte0_e32 v46, v34
	v_and_or_b32 v34, v36, 15, v40
	v_and_or_b32 v36, v37, 15, v38
	v_cvt_f32_ubyte0_e32 v47, v35
	v_cvt_f32_ubyte0_e32 v49, v36
	;; [unrolled: 1-line block ×3, first 2 shown]
	global_load_dwordx4 v[34:37], v[20:21], off
	global_load_dwordx4 v[38:41], v[20:21], off offset:128
	v_pk_fma_f32 v[48:49], v[42:43], v[48:49], v[44:45] neg_lo:[0,0,1] neg_hi:[0,0,1]
	v_pk_fma_f32 v[46:47], v[42:43], v[46:47], v[44:45] neg_lo:[0,0,1] neg_hi:[0,0,1]
	s_waitcnt vmcnt(1)
	v_mov_b32_e32 v50, v34
	s_waitcnt vmcnt(0)
	v_mov_b32_e32 v51, v38
	v_mov_b32_e32 v38, v35
	v_pk_mul_f32 v[34:35], v[38:39], v[48:49]
	v_lshrrev_b32_e32 v38, v6, v13
	v_lshlrev_b32_e32 v38, 4, v38
	v_and_b32_e32 v38, 16, v38
	v_lshrrev_b32_e32 v39, 16, v52
	v_and_or_b32 v38, v39, 15, v38
	v_lshrrev_b32_e32 v39, v3, v13
	v_lshlrev_b32_e32 v39, 4, v39
	v_pk_fma_f32 v[34:35], v[50:51], v[46:47], v[34:35]
	v_and_b32_e32 v39, 16, v39
	v_lshrrev_b32_e32 v46, 20, v52
	v_and_or_b32 v39, v46, 15, v39
	v_cvt_f32_ubyte0_e32 v39, v39
	v_cvt_f32_ubyte0_e32 v38, v38
	v_pk_fma_f32 v[38:39], v[42:43], v[38:39], v[44:45] neg_lo:[0,0,1] neg_hi:[0,0,1]
	v_mov_b32_e32 v46, v36
	v_mov_b32_e32 v47, v40
	v_pk_fma_f32 v[38:39], v[46:47], v[38:39], v[34:35]
	v_lshrrev_b32_e32 v34, v24, v13
	v_lshlrev_b32_e32 v34, 4, v34
	v_and_b32_e32 v34, 16, v34
	v_lshrrev_b32_e32 v35, 24, v52
	v_and_or_b32 v34, v35, 15, v34
	v_lshrrev_b32_e32 v35, v25, v13
	v_alignbit_b32 v35, v35, v52, 28
	v_and_b32_e32 v35, 31, v35
	v_cvt_f32_ubyte0_e32 v35, v35
	v_cvt_f32_ubyte0_e32 v34, v34
	v_pk_fma_f32 v[42:43], v[42:43], v[34:35], v[44:45] neg_lo:[0,0,1] neg_hi:[0,0,1]
	v_mov_b32_e32 v40, v37
	global_load_dwordx4 v[34:37], v[20:21], off offset:640
	v_pk_fma_f32 v[42:43], v[40:41], v[42:43], v[38:39]
	global_load_dwordx4 v[38:41], v[20:21], off offset:512
	v_lshrrev_b32_e32 v20, v22, v13
	v_lshrrev_b32_e32 v44, v2, v53
	;; [unrolled: 1-line block ×3, first 2 shown]
	v_lshlrev_b32_e32 v46, 4, v20
	v_lshrrev_b32_e32 v20, 8, v44
	v_and_b32_e32 v21, 48, v21
	v_and_or_b32 v20, v20, 15, v21
	v_lshrrev_b32_e32 v21, 2, v54
	v_bfe_u32 v45, v53, v2, 4
	v_and_or_b32 v21, v21, 48, v45
	v_lshrrev_b32_e32 v45, v26, v13
	v_lshlrev_b32_e32 v45, 4, v45
	v_cvt_f32_ubyte0_e32 v21, v21
	v_cvt_f32_ubyte0_e32 v20, v20
	v_and_b32_e32 v51, 16, v45
	v_lshrrev_b32_e32 v45, 10, v55
	v_pk_mul_f32 v[20:21], v[16:17], v[20:21] op_sel_hi:[0,1]
	v_lshrrev_b32_e32 v16, 12, v44
	v_and_b32_e32 v45, 48, v45
	v_and_or_b32 v16, v16, 15, v45
	v_lshrrev_b32_e32 v45, 2, v55
	v_bfe_u32 v44, v44, 4, 4
	v_and_or_b32 v44, v45, 48, v44
	v_cvt_f32_ubyte0_e32 v45, v44
	v_cvt_f32_ubyte0_e32 v44, v16
	v_lshrrev_b32_e32 v16, v23, v13
	v_lshlrev_b32_e32 v16, 4, v16
	v_lshrrev_b32_e32 v47, 4, v14
	v_and_b32_e32 v16, 16, v16
	v_add_f32_e32 v33, v33, v42
	v_and_b32_e32 v42, 15, v14
	v_and_or_b32 v16, v47, 15, v16
	v_lshrrev_b32_e32 v47, v5, v13
	v_lshrrev_b32_e32 v48, v8, v13
	v_and_or_b32 v42, v46, 16, v42
	v_lshlrev_b32_e32 v48, 4, v48
	v_lshlrev_b32_e32 v47, 4, v47
	v_add_f32_e32 v33, v33, v43
	v_cvt_f32_ubyte0_e32 v43, v42
	v_cvt_f32_ubyte0_e32 v42, v16
	v_lshrrev_b32_e32 v16, 8, v14
	v_lshrrev_b32_e32 v46, 12, v14
	v_and_b32_e32 v47, 16, v47
	v_and_b32_e32 v48, 16, v48
	v_and_or_b32 v46, v46, 15, v48
	v_and_or_b32 v16, v16, 15, v47
	v_pk_mul_f32 v[44:45], v[18:19], v[44:45] op_sel_hi:[0,1]
	v_cvt_f32_ubyte0_e32 v47, v16
	v_cvt_f32_ubyte0_e32 v46, v46
	v_pk_fma_f32 v[46:47], v[20:21], v[46:47], v[44:45] neg_lo:[0,0,1] neg_hi:[0,0,1]
	v_lshrrev_b32_e32 v18, v27, v13
	v_lshrrev_b32_e32 v16, 16, v14
	;; [unrolled: 1-line block ×3, first 2 shown]
	v_pk_fma_f32 v[42:43], v[20:21], v[42:43], v[44:45] neg_lo:[0,0,1] neg_hi:[0,0,1]
	s_waitcnt vmcnt(1)
	v_mov_b32_e32 v48, v34
	s_waitcnt vmcnt(0)
	v_mov_b32_e32 v49, v38
	v_mov_b32_e32 v38, v35
	v_pk_mul_f32 v[34:35], v[46:47], v[38:39]
	v_lshrrev_b32_e32 v39, v7, v13
	v_lshrrev_b32_e32 v13, v10, v13
	v_lshlrev_b32_e32 v13, 4, v13
	v_lshlrev_b32_e32 v39, 4, v39
	v_lshrrev_b32_e32 v38, 20, v14
	v_and_b32_e32 v39, 16, v39
	v_and_b32_e32 v13, 16, v13
	v_and_or_b32 v13, v38, 15, v13
	v_and_or_b32 v16, v16, 15, v39
	v_cvt_f32_ubyte0_e32 v39, v16
	v_cvt_f32_ubyte0_e32 v38, v13
	v_alignbit_b32 v14, v18, v14, 28
	v_pk_fma_f32 v[34:35], v[42:43], v[48:49], v[34:35]
	v_pk_fma_f32 v[38:39], v[20:21], v[38:39], v[44:45] neg_lo:[0,0,1] neg_hi:[0,0,1]
	v_mov_b32_e32 v42, v36
	v_mov_b32_e32 v43, v40
	v_and_or_b32 v13, v50, 15, v51
	v_and_b32_e32 v14, 31, v14
	v_pk_fma_f32 v[34:35], v[38:39], v[42:43], v[34:35]
	v_cvt_f32_ubyte0_e32 v38, v14
	v_cvt_f32_ubyte0_e32 v39, v13
	v_pk_fma_f32 v[20:21], v[20:21], v[38:39], v[44:45] neg_lo:[0,0,1] neg_hi:[0,0,1]
	v_mov_b32_e32 v40, v37
	v_pk_fma_f32 v[20:21], v[20:21], v[40:41], v[34:35]
	v_add_f32_e32 v13, v33, v21
	v_add_f32_e32 v33, v13, v20
	s_andn2_b64 exec, exec, s[0:1]
	s_cbranch_execz .LBB27_26
.LBB27_6:                               ; =>This Inner Loop Header: Depth=1
	v_mov_b32_e32 v13, v15
	v_lshlrev_b64 v[20:21], 2, v[12:13]
	v_add_co_u32_e32 v20, vcc, s8, v20
	v_addc_co_u32_e32 v21, vcc, v31, v21, vcc
	global_load_dword v13, v[20:21], off
	s_waitcnt vmcnt(0)
	v_bfe_u32 v14, v13, 15, 1
	v_bfe_u32 v18, v13, 10, 5
	v_cmp_lt_i32_e32 vcc, 30, v18
	v_lshlrev_b32_e32 v16, 31, v14
	s_and_saveexec_b64 s[2:3], vcc
	s_xor_b64 s[2:3], exec, s[2:3]
; %bb.7:                                ;   in Loop: Header=BB27_6 Depth=1
	v_lshlrev_b32_e32 v14, 31, v14
	v_lshlrev_b32_sdwa v16, v32, v13 dst_sel:DWORD dst_unused:UNUSED_PAD src0_sel:DWORD src1_sel:WORD_0
	v_or3_b32 v16, v14, v16, s24
                                        ; implicit-def: $vgpr18
                                        ; implicit-def: $vgpr14
; %bb.8:                                ;   in Loop: Header=BB27_6 Depth=1
	s_andn2_saveexec_b64 s[2:3], s[2:3]
	s_cbranch_execz .LBB27_16
; %bb.9:                                ;   in Loop: Header=BB27_6 Depth=1
	v_and_b32_e32 v20, 0x3ff, v13
	v_cmp_ne_u32_e32 vcc, 0, v18
	s_and_saveexec_b64 s[10:11], vcc
	s_xor_b64 s[10:11], exec, s[10:11]
; %bb.10:                               ;   in Loop: Header=BB27_6 Depth=1
	v_lshlrev_b32_e32 v14, 31, v14
	v_lshlrev_b32_e32 v16, 23, v18
	;; [unrolled: 1-line block ×3, first 2 shown]
	v_or3_b32 v14, v16, v14, v18
	v_add_u32_e32 v16, 0x38000000, v14
                                        ; implicit-def: $vgpr20
                                        ; implicit-def: $vgpr14
; %bb.11:                               ;   in Loop: Header=BB27_6 Depth=1
	s_andn2_saveexec_b64 s[10:11], s[10:11]
	s_cbranch_execz .LBB27_15
; %bb.12:                               ;   in Loop: Header=BB27_6 Depth=1
	v_cmp_ne_u32_e32 vcc, 0, v20
	s_and_saveexec_b64 s[14:15], vcc
	s_xor_b64 s[14:15], exec, s[14:15]
; %bb.13:                               ;   in Loop: Header=BB27_6 Depth=1
	v_ffbh_u32_e32 v16, v20
	v_xor_b32_e32 v18, 31, v16
	v_sub_u32_e32 v18, 9, v18
	v_lshlrev_b32_e32 v18, v18, v13
	v_lshlrev_b32_e32 v14, 31, v14
	;; [unrolled: 1-line block ×4, first 2 shown]
	v_and_or_b32 v14, v18, s26, v14
	v_sub_u32_e32 v14, v14, v16
	v_add_u32_e32 v16, 0x43000000, v14
; %bb.14:                               ;   in Loop: Header=BB27_6 Depth=1
	s_andn2_saveexec_b64 s[14:15], s[14:15]
	s_or_b64 exec, exec, s[14:15]
.LBB27_15:                              ;   in Loop: Header=BB27_6 Depth=1
	s_or_b64 exec, exec, s[10:11]
.LBB27_16:                              ;   in Loop: Header=BB27_6 Depth=1
	s_or_b64 exec, exec, s[2:3]
	v_bfe_u32 v20, v13, 26, 5
	v_cmp_lt_i32_e32 vcc, 30, v20
                                        ; implicit-def: $vgpr18
	s_and_saveexec_b64 s[2:3], vcc
	s_xor_b64 s[2:3], exec, s[2:3]
; %bb.17:                               ;   in Loop: Header=BB27_6 Depth=1
	v_and_b32_e32 v14, 0x80000000, v13
	v_lshlrev_b32_sdwa v13, v32, v13 dst_sel:DWORD dst_unused:UNUSED_PAD src0_sel:DWORD src1_sel:WORD_1
	v_or3_b32 v18, v13, v14, s24
                                        ; implicit-def: $vgpr13
                                        ; implicit-def: $vgpr20
; %bb.18:                               ;   in Loop: Header=BB27_6 Depth=1
	s_andn2_saveexec_b64 s[2:3], s[2:3]
	s_cbranch_execz .LBB27_5
; %bb.19:                               ;   in Loop: Header=BB27_6 Depth=1
	v_and_b32_sdwa v14, v13, s25 dst_sel:DWORD dst_unused:UNUSED_PAD src0_sel:WORD_1 src1_sel:DWORD
	v_cmp_ne_u32_e32 vcc, 0, v20
                                        ; implicit-def: $vgpr18
	s_and_saveexec_b64 s[10:11], vcc
	s_xor_b64 s[10:11], exec, s[10:11]
; %bb.20:                               ;   in Loop: Header=BB27_6 Depth=1
	v_and_b32_e32 v13, 0x80000000, v13
	v_lshlrev_b32_e32 v18, 23, v20
	v_lshlrev_b32_e32 v14, 13, v14
	v_or3_b32 v13, v18, v13, v14
	v_add_u32_e32 v18, 0x38000000, v13
                                        ; implicit-def: $vgpr13
                                        ; implicit-def: $vgpr14
; %bb.21:                               ;   in Loop: Header=BB27_6 Depth=1
	s_andn2_saveexec_b64 s[10:11], s[10:11]
	s_cbranch_execz .LBB27_4
; %bb.22:                               ;   in Loop: Header=BB27_6 Depth=1
	v_cmp_ne_u32_e32 vcc, 0, v14
                                        ; implicit-def: $vgpr18
	s_and_saveexec_b64 s[14:15], vcc
	s_xor_b64 s[14:15], exec, s[14:15]
; %bb.23:                               ;   in Loop: Header=BB27_6 Depth=1
	v_ffbh_u32_e32 v14, v14
	v_xor_b32_e32 v18, 31, v14
	v_sub_u32_e32 v18, 9, v18
	v_lshlrev_b32_sdwa v18, v18, v13 dst_sel:DWORD dst_unused:UNUSED_PAD src0_sel:DWORD src1_sel:WORD_1
	v_lshlrev_b32_e32 v18, 14, v18
	v_and_b32_e32 v18, 0x7fc000, v18
	v_lshlrev_b32_e32 v14, 23, v14
	v_and_or_b32 v13, v13, s27, v18
	v_sub_u32_e32 v13, v13, v14
	v_add_u32_e32 v18, 0x43000000, v13
                                        ; implicit-def: $vgpr13
; %bb.24:                               ;   in Loop: Header=BB27_6 Depth=1
	s_andn2_saveexec_b64 s[14:15], s[14:15]
	s_cbranch_execz .LBB27_3
; %bb.25:                               ;   in Loop: Header=BB27_6 Depth=1
	v_and_b32_e32 v18, 0x80000000, v13
	s_branch .LBB27_3
.LBB27_26:
	s_or_b64 exec, exec, s[0:1]
.LBB27_27:
	s_or_b64 exec, exec, s[6:7]
	v_mbcnt_lo_u32_b32 v1, -1, 0
	v_mbcnt_hi_u32_b32 v5, -1, v1
	v_and_b32_e32 v6, 63, v5
	v_cmp_gt_u32_e32 vcc, 48, v6
	v_cndmask_b32_e64 v1, 0, 1, vcc
	v_lshlrev_b32_e32 v1, 4, v1
	v_add_lshl_u32 v1, v1, v5, 2
	ds_bpermute_b32 v2, v1, v33
	v_cmp_gt_u32_e32 vcc, 56, v6
	v_cndmask_b32_e64 v3, 0, 1, vcc
	v_lshlrev_b32_e32 v3, 3, v3
	v_cmp_gt_u32_e32 vcc, 60, v6
	s_waitcnt lgkmcnt(0)
	v_add_f32_e32 v4, v33, v2
	v_add_lshl_u32 v2, v3, v5, 2
	ds_bpermute_b32 v3, v2, v4
	v_cndmask_b32_e64 v7, 0, 1, vcc
	v_lshlrev_b32_e32 v7, 2, v7
	v_cmp_gt_u32_e32 vcc, 62, v6
	v_cndmask_b32_e64 v8, 0, 1, vcc
	s_waitcnt lgkmcnt(0)
	v_add_f32_e32 v4, v4, v3
	v_add_lshl_u32 v3, v7, v5, 2
	ds_bpermute_b32 v7, v3, v4
	v_lshlrev_b32_e32 v8, 1, v8
	v_cmp_ne_u32_e32 vcc, 63, v6
	s_waitcnt lgkmcnt(0)
	v_add_f32_e32 v7, v4, v7
	v_add_lshl_u32 v4, v8, v5, 2
	ds_bpermute_b32 v8, v4, v7
	v_addc_co_u32_e32 v5, vcc, 0, v5, vcc
	v_lshlrev_b32_e32 v5, 2, v5
	s_waitcnt lgkmcnt(0)
	v_add_f32_e32 v6, v7, v8
	ds_bpermute_b32 v8, v5, v6
	v_and_b32_e32 v7, 31, v0
	v_cmp_eq_u32_e32 vcc, 0, v7
	s_and_saveexec_b64 s[0:1], vcc
	s_cbranch_execz .LBB27_29
; %bb.28:
	s_waitcnt lgkmcnt(0)
	v_add_f32_e32 v6, v6, v8
	v_lshrrev_b32_e32 v8, 3, v0
	ds_write_b32 v8, v6
.LBB27_29:
	s_or_b64 exec, exec, s[0:1]
	s_add_i32 s5, s5, 31
	s_lshr_b32 s0, s5, 5
	v_cmp_gt_u32_e32 vcc, s0, v0
	v_mov_b32_e32 v6, 0
	s_waitcnt lgkmcnt(0)
	s_barrier
	s_and_saveexec_b64 s[0:1], vcc
	s_cbranch_execz .LBB27_31
; %bb.30:
	v_lshlrev_b32_e32 v6, 2, v7
	ds_read_b32 v6, v6
.LBB27_31:
	s_or_b64 exec, exec, s[0:1]
	v_cmp_gt_u32_e32 vcc, 32, v0
	s_and_saveexec_b64 s[0:1], vcc
	s_cbranch_execz .LBB27_33
; %bb.32:
	s_waitcnt lgkmcnt(0)
	ds_bpermute_b32 v1, v1, v6
	s_waitcnt lgkmcnt(0)
	v_add_f32_e32 v1, v6, v1
	ds_bpermute_b32 v2, v2, v1
	s_waitcnt lgkmcnt(0)
	v_add_f32_e32 v1, v1, v2
	ds_bpermute_b32 v2, v3, v1
	s_waitcnt lgkmcnt(0)
	v_add_f32_e32 v1, v1, v2
	ds_bpermute_b32 v2, v4, v1
	s_waitcnt lgkmcnt(0)
	v_add_f32_e32 v1, v1, v2
	ds_bpermute_b32 v2, v5, v1
	s_waitcnt lgkmcnt(0)
	v_add_f32_e32 v6, v1, v2
.LBB27_33:
	s_or_b64 exec, exec, s[0:1]
	s_mov_b32 s5, 0
	v_cmp_eq_u32_e32 vcc, 0, v0
	s_and_saveexec_b64 s[0:1], vcc
	s_cbranch_execz .LBB27_35
; %bb.34:
	s_mul_hi_u32 s1, s16, s18
	s_mul_i32 s0, s16, s18
	s_lshl_b64 s[0:1], s[0:1], 2
	s_add_u32 s2, s12, s0
	s_addc_u32 s3, s13, s1
	s_lshl_b64 s[0:1], s[4:5], 2
	s_add_u32 s0, s2, s0
	s_addc_u32 s1, s3, s1
	v_mov_b32_e32 v0, 0
	s_waitcnt lgkmcnt(0)
	global_store_dword v0, v6, s[0:1]
.LBB27_35:
	s_endpgm
	.section	.rodata,"a",@progbits
	.p2align	6, 0x0
	.amdhsa_kernel dmmv_q5k_experts
		.amdhsa_group_segment_fixed_size 128
		.amdhsa_private_segment_fixed_size 0
		.amdhsa_kernarg_size 312
		.amdhsa_user_sgpr_count 6
		.amdhsa_user_sgpr_private_segment_buffer 1
		.amdhsa_user_sgpr_dispatch_ptr 0
		.amdhsa_user_sgpr_queue_ptr 0
		.amdhsa_user_sgpr_kernarg_segment_ptr 1
		.amdhsa_user_sgpr_dispatch_id 0
		.amdhsa_user_sgpr_flat_scratch_init 0
		.amdhsa_user_sgpr_kernarg_preload_length 0
		.amdhsa_user_sgpr_kernarg_preload_offset 0
		.amdhsa_user_sgpr_private_segment_size 0
		.amdhsa_uses_dynamic_stack 0
		.amdhsa_system_sgpr_private_segment_wavefront_offset 0
		.amdhsa_system_sgpr_workgroup_id_x 1
		.amdhsa_system_sgpr_workgroup_id_y 0
		.amdhsa_system_sgpr_workgroup_id_z 0
		.amdhsa_system_sgpr_workgroup_info 0
		.amdhsa_system_vgpr_workitem_id 0
		.amdhsa_next_free_vgpr 56
		.amdhsa_next_free_sgpr 28
		.amdhsa_accum_offset 56
		.amdhsa_reserve_vcc 1
		.amdhsa_reserve_flat_scratch 0
		.amdhsa_float_round_mode_32 0
		.amdhsa_float_round_mode_16_64 0
		.amdhsa_float_denorm_mode_32 3
		.amdhsa_float_denorm_mode_16_64 3
		.amdhsa_dx10_clamp 1
		.amdhsa_ieee_mode 1
		.amdhsa_fp16_overflow 0
		.amdhsa_tg_split 0
		.amdhsa_exception_fp_ieee_invalid_op 0
		.amdhsa_exception_fp_denorm_src 0
		.amdhsa_exception_fp_ieee_div_zero 0
		.amdhsa_exception_fp_ieee_overflow 0
		.amdhsa_exception_fp_ieee_underflow 0
		.amdhsa_exception_fp_ieee_inexact 0
		.amdhsa_exception_int_div_zero 0
	.end_amdhsa_kernel
	.text
.Lfunc_end27:
	.size	dmmv_q5k_experts, .Lfunc_end27-dmmv_q5k_experts
                                        ; -- End function
	.section	.AMDGPU.csdata,"",@progbits
; Kernel info:
; codeLenInByte = 2448
; NumSgprs: 32
; NumVgprs: 56
; NumAgprs: 0
; TotalNumVgprs: 56
; ScratchSize: 0
; MemoryBound: 0
; FloatMode: 240
; IeeeMode: 1
; LDSByteSize: 128 bytes/workgroup (compile time only)
; SGPRBlocks: 3
; VGPRBlocks: 6
; NumSGPRsForWavesPerEU: 32
; NumVGPRsForWavesPerEU: 56
; AccumOffset: 56
; Occupancy: 8
; WaveLimiterHint : 1
; COMPUTE_PGM_RSRC2:SCRATCH_EN: 0
; COMPUTE_PGM_RSRC2:USER_SGPR: 6
; COMPUTE_PGM_RSRC2:TRAP_HANDLER: 0
; COMPUTE_PGM_RSRC2:TGID_X_EN: 1
; COMPUTE_PGM_RSRC2:TGID_Y_EN: 0
; COMPUTE_PGM_RSRC2:TGID_Z_EN: 0
; COMPUTE_PGM_RSRC2:TIDIG_COMP_CNT: 0
; COMPUTE_PGM_RSRC3_GFX90A:ACCUM_OFFSET: 13
; COMPUTE_PGM_RSRC3_GFX90A:TG_SPLIT: 0
	.text
	.protected	dmmv_q5_1_experts       ; -- Begin function dmmv_q5_1_experts
	.globl	dmmv_q5_1_experts
	.p2align	8
	.type	dmmv_q5_1_experts,@function
dmmv_q5_1_experts:                      ; @dmmv_q5_1_experts
; %bb.0:
	s_load_dwordx2 s[2:3], s[4:5], 0x20
	s_load_dword s0, s[4:5], 0x30
	s_mov_b32 s17, 0
	s_waitcnt lgkmcnt(0)
	v_cvt_f32_u32_e32 v1, s2
	s_sub_i32 s1, 0, s2
	v_rcp_iflag_f32_e32 v1, v1
	v_mul_f32_e32 v1, 0x4f7ffffe, v1
	v_cvt_u32_f32_e32 v1, v1
	v_readfirstlane_b32 s7, v1
	s_mul_i32 s1, s1, s7
	s_mul_hi_u32 s1, s7, s1
	s_add_i32 s7, s7, s1
	s_mul_hi_u32 s1, s6, s7
	s_mul_i32 s7, s1, s2
	s_sub_i32 s7, s6, s7
	s_add_i32 s8, s1, 1
	s_sub_i32 s9, s7, s2
	s_cmp_ge_u32 s7, s2
	s_cselect_b32 s1, s8, s1
	s_cselect_b32 s7, s9, s7
	s_add_i32 s8, s1, 1
	s_cmp_ge_u32 s7, s2
	s_cselect_b32 s16, s8, s1
	s_cmp_ge_u32 s16, s0
	s_cbranch_scc1 .LBB28_35
; %bb.1:
	s_load_dwordx8 s[8:15], s[4:5], 0x0
	s_mul_i32 s0, s16, s2
	s_sub_i32 s6, s6, s0
	s_mov_b32 s7, s17
	v_cmp_gt_u32_e32 vcc, s3, v0
	v_mov_b32_e32 v1, 0
	s_and_saveexec_b64 s[18:19], vcc
	s_cbranch_execz .LBB28_29
; %bb.2:
	s_lshr_b32 s20, s3, 5
	s_lshl_b64 s[0:1], s[16:17], 2
	s_waitcnt lgkmcnt(0)
	s_add_u32 s0, s14, s0
	s_addc_u32 s1, s15, s1
	s_load_dword s17, s[0:1], 0x0
	s_load_dwordx2 s[14:15], s[4:5], 0x28
	s_load_dword s21, s[4:5], 0x34
	s_load_dword s22, s[4:5], 0x44
	v_mov_b32_e32 v3, 0
	s_mov_b32 s23, 0x6050400
	s_waitcnt lgkmcnt(0)
	s_mul_hi_u32 s0, s17, s14
	s_mul_i32 s17, s17, s14
	s_add_u32 s1, s8, s17
	s_addc_u32 s0, s9, s0
	s_add_u32 s1, s1, s21
	s_mul_i32 s8, s20, 24
	s_addc_u32 s0, s0, 0
	s_mul_hi_u32 s9, s8, s6
	s_mul_i32 s8, s8, s6
	s_add_u32 s8, s1, s8
	s_addc_u32 s9, s0, s9
	s_mul_hi_u32 s1, s15, s16
	s_mul_i32 s0, s15, s16
	s_lshl_b64 s[0:1], s[0:1], 2
	s_add_u32 s17, s10, s0
	s_addc_u32 s0, s11, s1
	s_and_b32 s22, s22, 0xffff
	s_mov_b64 s[10:11], 0
	v_mov_b32_e32 v6, s9
	s_mov_b32 s24, 0x7f800000
	s_mov_b32 s25, 0x7fc000
	v_mov_b32_e32 v7, s0
	v_mov_b32_e32 v1, 0
	v_mov_b32_e32 v2, v0
	s_branch .LBB28_4
.LBB28_3:                               ;   in Loop: Header=BB28_4 Depth=1
	s_or_b64 exec, exec, s[0:1]
	v_lshlrev_b64 v[4:5], 2, v[2:3]
	v_add_co_u32_e32 v4, vcc, s17, v4
	v_addc_co_u32_e32 v5, vcc, v7, v5, vcc
	global_load_dword v4, v[4:5], off
	s_waitcnt vmcnt(1)
	v_lshrrev_b32_e32 v5, v11, v10
	v_lshlrev_b32_e32 v5, 4, v5
	v_and_or_b32 v5, v5, 16, v12
	v_cvt_f32_ubyte0_e32 v5, v5
	v_add_u32_e32 v2, s22, v2
	v_fmac_f32_e32 v9, v8, v5
	v_cmp_le_u32_e32 vcc, s3, v2
	s_or_b64 s[10:11], vcc, s[10:11]
	s_waitcnt vmcnt(0)
	v_fmac_f32_e32 v1, v4, v9
	s_andn2_b64 exec, exec, s[10:11]
	s_cbranch_execz .LBB28_28
.LBB28_4:                               ; =>This Inner Loop Header: Depth=1
	v_lshrrev_b32_e32 v4, 5, v2
	v_mul_lo_u32 v4, v4, 24
	global_load_ushort v5, v4, s[8:9]
	s_waitcnt vmcnt(0)
	v_lshrrev_b16_e32 v8, 8, v5
	v_lshrrev_b32_e32 v9, 7, v8
	v_bfe_u32 v10, v8, 2, 5
	v_perm_b32 v5, v8, v5, s23
	v_cmp_lt_i32_e32 vcc, 30, v10
	v_lshlrev_b32_e32 v8, 31, v9
	s_and_saveexec_b64 s[0:1], vcc
	s_xor_b64 s[0:1], exec, s[0:1]
; %bb.5:                                ;   in Loop: Header=BB28_4 Depth=1
	v_lshlrev_b32_e32 v8, 31, v9
	v_lshlrev_b32_e32 v5, 13, v5
	v_or3_b32 v8, v5, v8, s24
                                        ; implicit-def: $vgpr5
                                        ; implicit-def: $vgpr10
                                        ; implicit-def: $vgpr9
; %bb.6:                                ;   in Loop: Header=BB28_4 Depth=1
	s_andn2_saveexec_b64 s[0:1], s[0:1]
	s_cbranch_execz .LBB28_14
; %bb.7:                                ;   in Loop: Header=BB28_4 Depth=1
	v_and_b32_e32 v11, 0x3ff, v5
	v_cmp_ne_u32_e32 vcc, 0, v10
	s_and_saveexec_b64 s[14:15], vcc
	s_xor_b64 s[14:15], exec, s[14:15]
; %bb.8:                                ;   in Loop: Header=BB28_4 Depth=1
	v_lshlrev_b32_e32 v5, 31, v9
	v_lshlrev_b32_e32 v8, 23, v10
	v_lshlrev_b32_e32 v9, 13, v11
	v_or3_b32 v5, v8, v5, v9
	v_add_u32_e32 v8, 0x38000000, v5
                                        ; implicit-def: $vgpr11
                                        ; implicit-def: $vgpr5
                                        ; implicit-def: $vgpr9
; %bb.9:                                ;   in Loop: Header=BB28_4 Depth=1
	s_andn2_saveexec_b64 s[14:15], s[14:15]
	s_cbranch_execz .LBB28_13
; %bb.10:                               ;   in Loop: Header=BB28_4 Depth=1
	v_cmp_ne_u32_e32 vcc, 0, v11
	s_and_saveexec_b64 s[20:21], vcc
	s_xor_b64 s[20:21], exec, s[20:21]
; %bb.11:                               ;   in Loop: Header=BB28_4 Depth=1
	v_ffbh_u32_e32 v8, v11
	v_xor_b32_e32 v10, 31, v8
	v_sub_u32_e32 v10, 9, v10
	v_lshlrev_b32_e32 v5, v10, v5
	v_lshlrev_b32_e32 v9, 31, v9
	;; [unrolled: 1-line block ×4, first 2 shown]
	v_and_or_b32 v5, v5, s25, v9
	v_sub_u32_e32 v5, v5, v8
	v_add_u32_e32 v8, 0x43000000, v5
; %bb.12:                               ;   in Loop: Header=BB28_4 Depth=1
	s_andn2_saveexec_b64 s[20:21], s[20:21]
	s_or_b64 exec, exec, s[20:21]
.LBB28_13:                              ;   in Loop: Header=BB28_4 Depth=1
	s_or_b64 exec, exec, s[14:15]
.LBB28_14:                              ;   in Loop: Header=BB28_4 Depth=1
	s_or_b64 exec, exec, s[0:1]
	v_add_co_u32_e32 v4, vcc, s8, v4
	v_addc_co_u32_e32 v5, vcc, 0, v6, vcc
	global_load_ushort v9, v[4:5], off offset:2
	s_waitcnt vmcnt(0)
	v_lshrrev_b16_e32 v12, 8, v9
	v_perm_b32 v10, v12, v9, s23
	v_lshrrev_b32_e32 v11, 7, v12
	v_bfe_u32 v12, v12, 2, 5
	v_cmp_lt_i32_e32 vcc, 30, v12
	v_lshlrev_b32_e32 v9, 31, v11
	s_and_saveexec_b64 s[0:1], vcc
	s_xor_b64 s[0:1], exec, s[0:1]
; %bb.15:                               ;   in Loop: Header=BB28_4 Depth=1
	v_lshlrev_b32_e32 v9, 31, v11
	v_lshlrev_b32_e32 v10, 13, v10
	v_or3_b32 v9, v10, v9, s24
                                        ; implicit-def: $vgpr10
                                        ; implicit-def: $vgpr12
                                        ; implicit-def: $vgpr11
; %bb.16:                               ;   in Loop: Header=BB28_4 Depth=1
	s_andn2_saveexec_b64 s[0:1], s[0:1]
	s_cbranch_execz .LBB28_24
; %bb.17:                               ;   in Loop: Header=BB28_4 Depth=1
	v_and_b32_e32 v13, 0x3ff, v10
	v_cmp_ne_u32_e32 vcc, 0, v12
	s_and_saveexec_b64 s[14:15], vcc
	s_xor_b64 s[14:15], exec, s[14:15]
; %bb.18:                               ;   in Loop: Header=BB28_4 Depth=1
	v_lshlrev_b32_e32 v9, 31, v11
	v_lshlrev_b32_e32 v10, 23, v12
	v_lshlrev_b32_e32 v11, 13, v13
	v_or3_b32 v9, v10, v9, v11
	v_add_u32_e32 v9, 0x38000000, v9
                                        ; implicit-def: $vgpr13
                                        ; implicit-def: $vgpr10
                                        ; implicit-def: $vgpr11
; %bb.19:                               ;   in Loop: Header=BB28_4 Depth=1
	s_andn2_saveexec_b64 s[14:15], s[14:15]
	s_cbranch_execz .LBB28_23
; %bb.20:                               ;   in Loop: Header=BB28_4 Depth=1
	v_cmp_ne_u32_e32 vcc, 0, v13
	s_and_saveexec_b64 s[20:21], vcc
	s_xor_b64 s[20:21], exec, s[20:21]
; %bb.21:                               ;   in Loop: Header=BB28_4 Depth=1
	v_ffbh_u32_e32 v9, v13
	v_xor_b32_e32 v12, 31, v9
	v_sub_u32_e32 v12, 9, v12
	v_lshlrev_b32_e32 v10, v12, v10
	v_lshlrev_b32_e32 v11, 31, v11
	;; [unrolled: 1-line block ×4, first 2 shown]
	v_and_or_b32 v10, v10, s25, v11
	v_sub_u32_e32 v9, v10, v9
	v_add_u32_e32 v9, 0x43000000, v9
; %bb.22:                               ;   in Loop: Header=BB28_4 Depth=1
	s_andn2_saveexec_b64 s[20:21], s[20:21]
	s_or_b64 exec, exec, s[20:21]
.LBB28_23:                              ;   in Loop: Header=BB28_4 Depth=1
	s_or_b64 exec, exec, s[14:15]
.LBB28_24:                              ;   in Loop: Header=BB28_4 Depth=1
	s_or_b64 exec, exec, s[0:1]
	global_load_dword v10, v[4:5], off offset:4
	v_and_b32_e32 v11, 31, v2
	v_add_co_u32_e64 v4, s[0:1], v4, v11
	v_cmp_lt_u32_e32 vcc, 15, v11
	v_addc_co_u32_e64 v5, s[0:1], 0, v5, s[0:1]
                                        ; implicit-def: $vgpr12
	s_and_saveexec_b64 s[0:1], vcc
	s_xor_b64 s[0:1], exec, s[0:1]
	s_cbranch_execz .LBB28_26
; %bb.25:                               ;   in Loop: Header=BB28_4 Depth=1
	global_load_ubyte v4, v[4:5], off offset:-8
	s_waitcnt vmcnt(0)
	v_lshrrev_b16_e32 v12, 4, v4
                                        ; implicit-def: $vgpr4_vgpr5
.LBB28_26:                              ;   in Loop: Header=BB28_4 Depth=1
	s_andn2_saveexec_b64 s[0:1], s[0:1]
	s_cbranch_execz .LBB28_3
; %bb.27:                               ;   in Loop: Header=BB28_4 Depth=1
	global_load_ubyte v4, v[4:5], off offset:8
	s_waitcnt vmcnt(0)
	v_and_b32_e32 v12, 15, v4
	s_branch .LBB28_3
.LBB28_28:
	s_or_b64 exec, exec, s[10:11]
.LBB28_29:
	s_or_b64 exec, exec, s[18:19]
	v_mbcnt_lo_u32_b32 v2, -1, 0
	v_mbcnt_hi_u32_b32 v5, -1, v2
	v_and_b32_e32 v6, 63, v5
	v_cmp_gt_u32_e32 vcc, 48, v6
	v_cndmask_b32_e64 v2, 0, 1, vcc
	v_lshlrev_b32_e32 v2, 4, v2
	v_add_lshl_u32 v2, v2, v5, 2
	ds_bpermute_b32 v3, v2, v1
	v_cmp_gt_u32_e32 vcc, 56, v6
	v_cndmask_b32_e64 v4, 0, 1, vcc
	v_lshlrev_b32_e32 v4, 3, v4
	v_cmp_gt_u32_e32 vcc, 60, v6
	s_waitcnt lgkmcnt(0)
	v_add_f32_e32 v3, v1, v3
	v_add_lshl_u32 v1, v4, v5, 2
	ds_bpermute_b32 v4, v1, v3
	v_cndmask_b32_e64 v7, 0, 1, vcc
	v_lshlrev_b32_e32 v7, 2, v7
	v_cmp_gt_u32_e32 vcc, 62, v6
	v_cndmask_b32_e64 v8, 0, 1, vcc
	s_waitcnt lgkmcnt(0)
	v_add_f32_e32 v4, v3, v4
	v_add_lshl_u32 v3, v7, v5, 2
	ds_bpermute_b32 v7, v3, v4
	v_lshlrev_b32_e32 v8, 1, v8
	v_cmp_ne_u32_e32 vcc, 63, v6
	s_waitcnt lgkmcnt(0)
	v_add_f32_e32 v7, v4, v7
	v_add_lshl_u32 v4, v8, v5, 2
	ds_bpermute_b32 v8, v4, v7
	v_addc_co_u32_e32 v5, vcc, 0, v5, vcc
	v_lshlrev_b32_e32 v5, 2, v5
	s_waitcnt lgkmcnt(0)
	v_add_f32_e32 v6, v7, v8
	ds_bpermute_b32 v8, v5, v6
	v_and_b32_e32 v7, 31, v0
	v_cmp_eq_u32_e32 vcc, 0, v7
	s_and_saveexec_b64 s[0:1], vcc
	s_cbranch_execz .LBB28_31
; %bb.30:
	s_waitcnt lgkmcnt(0)
	v_add_f32_e32 v6, v6, v8
	v_lshrrev_b32_e32 v8, 3, v0
	ds_write_b32 v8, v6
.LBB28_31:
	s_or_b64 exec, exec, s[0:1]
	s_waitcnt lgkmcnt(0)
	s_barrier
	s_load_dword s0, s[4:5], 0x44
	v_mov_b32_e32 v6, 0
	s_waitcnt lgkmcnt(0)
	s_and_b32 s0, s0, 0xffff
	s_add_i32 s0, s0, 31
	s_lshr_b32 s0, s0, 5
	v_cmp_gt_u32_e32 vcc, s0, v0
	s_and_saveexec_b64 s[0:1], vcc
	s_cbranch_execnz .LBB28_36
; %bb.32:
	s_or_b64 exec, exec, s[0:1]
	v_cmp_gt_u32_e32 vcc, 32, v0
	s_and_saveexec_b64 s[0:1], vcc
	s_cbranch_execnz .LBB28_37
.LBB28_33:
	s_or_b64 exec, exec, s[0:1]
	v_cmp_eq_u32_e32 vcc, 0, v0
	s_and_saveexec_b64 s[0:1], vcc
	s_cbranch_execz .LBB28_35
.LBB28_34:
	s_mul_hi_u32 s1, s16, s2
	s_mul_i32 s0, s16, s2
	s_lshl_b64 s[0:1], s[0:1], 2
	s_add_u32 s2, s12, s0
	s_addc_u32 s3, s13, s1
	s_lshl_b64 s[0:1], s[6:7], 2
	s_add_u32 s0, s2, s0
	s_addc_u32 s1, s3, s1
	v_mov_b32_e32 v0, 0
	s_waitcnt lgkmcnt(0)
	global_store_dword v0, v6, s[0:1]
.LBB28_35:
	s_endpgm
.LBB28_36:
	v_lshlrev_b32_e32 v6, 2, v7
	ds_read_b32 v6, v6
	s_or_b64 exec, exec, s[0:1]
	v_cmp_gt_u32_e32 vcc, 32, v0
	s_and_saveexec_b64 s[0:1], vcc
	s_cbranch_execz .LBB28_33
.LBB28_37:
	s_waitcnt lgkmcnt(0)
	ds_bpermute_b32 v2, v2, v6
	s_waitcnt lgkmcnt(0)
	v_add_f32_e32 v2, v6, v2
	ds_bpermute_b32 v1, v1, v2
	s_waitcnt lgkmcnt(0)
	v_add_f32_e32 v1, v2, v1
	;; [unrolled: 3-line block ×5, first 2 shown]
	s_or_b64 exec, exec, s[0:1]
	v_cmp_eq_u32_e32 vcc, 0, v0
	s_and_saveexec_b64 s[0:1], vcc
	s_cbranch_execnz .LBB28_34
	s_branch .LBB28_35
	.section	.rodata,"a",@progbits
	.p2align	6, 0x0
	.amdhsa_kernel dmmv_q5_1_experts
		.amdhsa_group_segment_fixed_size 128
		.amdhsa_private_segment_fixed_size 0
		.amdhsa_kernarg_size 312
		.amdhsa_user_sgpr_count 6
		.amdhsa_user_sgpr_private_segment_buffer 1
		.amdhsa_user_sgpr_dispatch_ptr 0
		.amdhsa_user_sgpr_queue_ptr 0
		.amdhsa_user_sgpr_kernarg_segment_ptr 1
		.amdhsa_user_sgpr_dispatch_id 0
		.amdhsa_user_sgpr_flat_scratch_init 0
		.amdhsa_user_sgpr_kernarg_preload_length 0
		.amdhsa_user_sgpr_kernarg_preload_offset 0
		.amdhsa_user_sgpr_private_segment_size 0
		.amdhsa_uses_dynamic_stack 0
		.amdhsa_system_sgpr_private_segment_wavefront_offset 0
		.amdhsa_system_sgpr_workgroup_id_x 1
		.amdhsa_system_sgpr_workgroup_id_y 0
		.amdhsa_system_sgpr_workgroup_id_z 0
		.amdhsa_system_sgpr_workgroup_info 0
		.amdhsa_system_vgpr_workitem_id 0
		.amdhsa_next_free_vgpr 14
		.amdhsa_next_free_sgpr 26
		.amdhsa_accum_offset 16
		.amdhsa_reserve_vcc 1
		.amdhsa_reserve_flat_scratch 0
		.amdhsa_float_round_mode_32 0
		.amdhsa_float_round_mode_16_64 0
		.amdhsa_float_denorm_mode_32 3
		.amdhsa_float_denorm_mode_16_64 3
		.amdhsa_dx10_clamp 1
		.amdhsa_ieee_mode 1
		.amdhsa_fp16_overflow 0
		.amdhsa_tg_split 0
		.amdhsa_exception_fp_ieee_invalid_op 0
		.amdhsa_exception_fp_denorm_src 0
		.amdhsa_exception_fp_ieee_div_zero 0
		.amdhsa_exception_fp_ieee_overflow 0
		.amdhsa_exception_fp_ieee_underflow 0
		.amdhsa_exception_fp_ieee_inexact 0
		.amdhsa_exception_int_div_zero 0
	.end_amdhsa_kernel
	.text
.Lfunc_end28:
	.size	dmmv_q5_1_experts, .Lfunc_end28-dmmv_q5_1_experts
                                        ; -- End function
	.section	.AMDGPU.csdata,"",@progbits
; Kernel info:
; codeLenInByte = 1456
; NumSgprs: 30
; NumVgprs: 14
; NumAgprs: 0
; TotalNumVgprs: 14
; ScratchSize: 0
; MemoryBound: 0
; FloatMode: 240
; IeeeMode: 1
; LDSByteSize: 128 bytes/workgroup (compile time only)
; SGPRBlocks: 3
; VGPRBlocks: 1
; NumSGPRsForWavesPerEU: 30
; NumVGPRsForWavesPerEU: 14
; AccumOffset: 16
; Occupancy: 8
; WaveLimiterHint : 1
; COMPUTE_PGM_RSRC2:SCRATCH_EN: 0
; COMPUTE_PGM_RSRC2:USER_SGPR: 6
; COMPUTE_PGM_RSRC2:TRAP_HANDLER: 0
; COMPUTE_PGM_RSRC2:TGID_X_EN: 1
; COMPUTE_PGM_RSRC2:TGID_Y_EN: 0
; COMPUTE_PGM_RSRC2:TGID_Z_EN: 0
; COMPUTE_PGM_RSRC2:TIDIG_COMP_CNT: 0
; COMPUTE_PGM_RSRC3_GFX90A:ACCUM_OFFSET: 3
; COMPUTE_PGM_RSRC3_GFX90A:TG_SPLIT: 0
	.text
	.protected	dmmv_q8_0_fast          ; -- Begin function dmmv_q8_0_fast
	.globl	dmmv_q8_0_fast
	.p2align	8
	.type	dmmv_q8_0_fast,@function
dmmv_q8_0_fast:                         ; @dmmv_q8_0_fast
; %bb.0:
	s_load_dword s0, s[4:5], 0x18
	s_add_u32 s12, s4, 24
	s_addc_u32 s13, s5, 0
	s_waitcnt lgkmcnt(0)
	s_cmp_ge_u32 s6, s0
	s_cbranch_scc1 .LBB29_25
; %bb.1:
	s_load_dwordx2 s[14:15], s[4:5], 0x1c
	s_load_dwordx2 s[10:11], s[4:5], 0x10
	s_load_dwordx4 s[0:3], s[4:5], 0x0
	s_load_dwordx2 s[8:9], s[12:13], 0x10
	v_mov_b32_e32 v1, 0
	s_waitcnt lgkmcnt(0)
	s_lshr_b32 s7, s14, 5
	v_cmp_gt_u32_e32 vcc, s7, v0
	s_and_saveexec_b64 s[12:13], vcc
	s_cbranch_execz .LBB29_15
; %bb.2:
	s_load_dword s20, s[4:5], 0x24
	s_load_dword s18, s[4:5], 0x3c
	s_mul_i32 s16, s6, s7
	s_mul_hi_u32 s17, s6, s7
	s_mul_i32 s17, s17, 34
	s_mul_hi_u32 s19, s16, 34
	s_add_i32 s19, s19, s17
	s_waitcnt lgkmcnt(0)
	s_and_b32 s18, s18, 0xffff
	s_add_u32 s0, s0, s15
	s_mul_i32 s16, s16, 34
	s_addc_u32 s1, s1, 0
	s_add_u32 s0, s0, s16
	s_addc_u32 s1, s1, s19
	v_mad_u64_u32 v[2:3], s[0:1], v0, 34, s[0:1]
	s_and_b32 s0, s20, -4
	v_add_co_u32_e32 v10, vcc, 33, v2
	s_add_u32 s0, s2, s0
	v_addc_co_u32_e32 v11, vcc, 0, v3, vcc
	v_lshlrev_b32_e32 v1, 7, v0
	s_addc_u32 s1, s3, 0
	v_mov_b32_e32 v2, s1
	v_add_co_u32_e32 v1, vcc, s0, v1
	v_addc_co_u32_e32 v2, vcc, 0, v2, vcc
	s_mov_b32 s14, 0
	v_add_co_u32_e32 v12, vcc, 64, v1
	s_mul_i32 s19, s18, 34
	v_addc_co_u32_e32 v13, vcc, 0, v2, vcc
	s_lshl_b32 s20, s18, 7
	s_mov_b64 s[0:1], 0
	v_mov_b32_e32 v1, 0
	s_mov_b32 s21, 0x6050400
	s_mov_b32 s22, 0x7f800000
	;; [unrolled: 1-line block ×3, first 2 shown]
	v_mov_b32_e32 v14, s14
	v_mov_b32_e32 v15, s14
	;; [unrolled: 1-line block ×3, first 2 shown]
	s_branch .LBB29_6
.LBB29_3:                               ;   in Loop: Header=BB29_6 Depth=1
	s_andn2_saveexec_b64 s[16:17], s[16:17]
	s_or_b64 exec, exec, s[16:17]
.LBB29_4:                               ;   in Loop: Header=BB29_6 Depth=1
	s_or_b64 exec, exec, s[14:15]
.LBB29_5:                               ;   in Loop: Header=BB29_6 Depth=1
	s_or_b64 exec, exec, s[2:3]
	global_load_dwordx4 v[2:5], v[10:11], off offset:-31
	global_load_dwordx4 v[18:21], v[12:13], off offset:-64
	;; [unrolled: 1-line block ×6, first 2 shown]
	global_load_dwordx4 v[6:9], v[12:13], off offset:16
	global_load_dwordx4 v[38:41], v[12:13], off
	v_add_co_u32_e32 v10, vcc, s19, v10
	v_add_u32_e32 v16, s18, v16
	v_addc_co_u32_e32 v11, vcc, v11, v14, vcc
	v_cmp_le_u32_e32 vcc, s7, v16
	s_or_b64 s[0:1], vcc, s[0:1]
	s_waitcnt vmcnt(7)
	v_lshrrev_b32_e32 v43, 8, v2
	v_bfe_i32 v46, v3, 0, 8
	v_lshrrev_b32_e32 v47, 8, v3
	v_lshrrev_b32_e32 v48, 16, v3
	;; [unrolled: 1-line block ×3, first 2 shown]
	v_bfe_i32 v3, v43, 0, 8
	v_bfe_i32 v42, v2, 0, 8
	v_cvt_f32_i32_sdwa v3, sext(v3) dst_sel:DWORD dst_unused:UNUSED_PAD src0_sel:WORD_0
	v_bfe_i32 v54, v5, 0, 8
	v_lshrrev_b32_e32 v55, 8, v5
	v_lshrrev_b32_e32 v56, 16, v5
	;; [unrolled: 1-line block ×3, first 2 shown]
	v_cvt_f32_i32_sdwa v5, sext(v42) dst_sel:DWORD dst_unused:UNUSED_PAD src0_sel:WORD_0
	v_lshrrev_b32_e32 v44, 16, v2
	v_lshrrev_b32_e32 v2, 24, v2
	v_bfe_i32 v50, v4, 0, 8
	v_lshrrev_b32_e32 v51, 8, v4
	v_lshrrev_b32_e32 v52, 16, v4
	;; [unrolled: 1-line block ×3, first 2 shown]
	v_bfe_i32 v4, v44, 0, 8
	v_bfe_i32 v2, v2, 0, 8
	s_waitcnt vmcnt(6)
	v_mul_f32_e32 v19, v19, v3
	v_cvt_f32_i32_sdwa v58, sext(v4) dst_sel:DWORD dst_unused:UNUSED_PAD src0_sel:WORD_0
	v_cvt_f32_i32_sdwa v59, sext(v2) dst_sel:DWORD dst_unused:UNUSED_PAD src0_sel:WORD_0
	v_fmac_f32_e32 v19, v18, v5
	global_load_dwordx4 v[2:5], v[12:13], off offset:48
	global_load_dwordx4 v[42:45], v[12:13], off offset:32
	v_bfe_i32 v47, v47, 0, 8
	v_cvt_f32_i32_sdwa v47, sext(v47) dst_sel:DWORD dst_unused:UNUSED_PAD src0_sel:WORD_0
	v_cvt_f32_i32_sdwa v46, sext(v46) dst_sel:DWORD dst_unused:UNUSED_PAD src0_sel:WORD_0
	;; [unrolled: 1-line block ×3, first 2 shown]
	v_fmac_f32_e32 v19, v20, v58
	s_waitcnt vmcnt(6)
	v_mul_f32_e32 v27, v27, v47
	v_fmac_f32_e32 v27, v26, v46
	v_bfe_i32 v46, v51, 0, 8
	v_bfe_i32 v47, v55, 0, 8
	v_cvt_f32_i32_sdwa v46, sext(v46) dst_sel:DWORD dst_unused:UNUSED_PAD src0_sel:WORD_0
	v_cvt_f32_i32_sdwa v47, sext(v47) dst_sel:DWORD dst_unused:UNUSED_PAD src0_sel:WORD_0
	;; [unrolled: 1-line block ×3, first 2 shown]
	v_lshrrev_b32_e32 v20, 8, v22
	s_waitcnt vmcnt(5)
	v_mul_f32_e32 v31, v31, v46
	v_fmac_f32_e32 v31, v30, v50
	s_waitcnt vmcnt(4)
	v_mul_f32_e32 v30, v35, v47
	v_bfe_i32 v35, v48, 0, 8
	v_cvt_f32_i32_sdwa v35, sext(v35) dst_sel:DWORD dst_unused:UNUSED_PAD src0_sel:WORD_0
	v_bfe_i32 v47, v56, 0, 8
	v_bfe_i32 v46, v52, 0, 8
	v_cvt_f32_i32_sdwa v47, sext(v47) dst_sel:DWORD dst_unused:UNUSED_PAD src0_sel:WORD_0
	v_cvt_f32_i32_sdwa v46, sext(v46) dst_sel:DWORD dst_unused:UNUSED_PAD src0_sel:WORD_0
	v_fmac_f32_e32 v30, v34, v51
	v_fmac_f32_e32 v27, v28, v35
	v_bfe_i32 v35, v49, 0, 8
	v_bfe_i32 v20, v20, 0, 8
	;; [unrolled: 1-line block ×3, first 2 shown]
	v_fmac_f32_e32 v19, v21, v59
	v_lshrrev_b32_e32 v21, 16, v22
	v_fmac_f32_e32 v30, v36, v47
	v_bfe_i32 v36, v53, 0, 8
	v_cvt_f32_i32_sdwa v35, sext(v35) dst_sel:DWORD dst_unused:UNUSED_PAD src0_sel:WORD_0
	v_cvt_f32_i32_sdwa v20, sext(v20) dst_sel:DWORD dst_unused:UNUSED_PAD src0_sel:WORD_0
	v_lshrrev_b32_e32 v22, 24, v22
	v_fmac_f32_e32 v31, v32, v46
	v_bfe_i32 v46, v57, 0, 8
	v_bfe_i32 v21, v21, 0, 8
	v_cvt_f32_i32_sdwa v36, sext(v36) dst_sel:DWORD dst_unused:UNUSED_PAD src0_sel:WORD_0
	v_cvt_f32_i32_sdwa v18, sext(v18) dst_sel:DWORD dst_unused:UNUSED_PAD src0_sel:WORD_0
	v_bfe_i32 v22, v22, 0, 8
	v_cvt_f32_i32_sdwa v46, sext(v46) dst_sel:DWORD dst_unused:UNUSED_PAD src0_sel:WORD_0
	v_cvt_f32_i32_sdwa v21, sext(v21) dst_sel:DWORD dst_unused:UNUSED_PAD src0_sel:WORD_0
	;; [unrolled: 1-line block ×3, first 2 shown]
	v_fmac_f32_e32 v27, v29, v35
	v_fmac_f32_e32 v1, v19, v17
	s_waitcnt vmcnt(2)
	v_mul_f32_e32 v20, v39, v20
	v_lshrrev_b32_e32 v59, 8, v23
	v_fmac_f32_e32 v31, v33, v36
	v_fmac_f32_e32 v1, v27, v17
	;; [unrolled: 1-line block ×3, first 2 shown]
	v_bfe_i32 v47, v59, 0, 8
	v_fmac_f32_e32 v30, v37, v46
	v_fmac_f32_e32 v1, v31, v17
	;; [unrolled: 1-line block ×3, first 2 shown]
	v_bfe_i32 v58, v23, 0, 8
	v_lshrrev_b32_e32 v26, 16, v23
	v_fmac_f32_e32 v1, v30, v17
	v_fmac_f32_e32 v20, v41, v22
	v_cvt_f32_i32_sdwa v18, sext(v47) dst_sel:DWORD dst_unused:UNUSED_PAD src0_sel:WORD_0
	v_lshrrev_b32_e32 v23, 24, v23
	v_bfe_i32 v26, v26, 0, 8
	v_fmac_f32_e32 v1, v20, v17
	v_cvt_f32_i32_sdwa v20, sext(v58) dst_sel:DWORD dst_unused:UNUSED_PAD src0_sel:WORD_0
	v_bfe_i32 v23, v23, 0, 8
	v_cvt_f32_i32_sdwa v21, sext(v26) dst_sel:DWORD dst_unused:UNUSED_PAD src0_sel:WORD_0
	v_cvt_f32_i32_sdwa v22, sext(v23) dst_sel:DWORD dst_unused:UNUSED_PAD src0_sel:WORD_0
	v_mul_f32_e32 v7, v7, v18
	v_lshrrev_b32_e32 v28, 8, v24
	v_fmac_f32_e32 v7, v6, v20
	v_bfe_i32 v28, v28, 0, 8
	v_fmac_f32_e32 v7, v8, v21
	v_bfe_i32 v34, v24, 0, 8
	v_lshrrev_b32_e32 v32, 16, v24
	v_fmac_f32_e32 v7, v9, v22
	v_cvt_f32_i32_sdwa v6, sext(v28) dst_sel:DWORD dst_unused:UNUSED_PAD src0_sel:WORD_0
	v_lshrrev_b32_e32 v24, 24, v24
	v_bfe_i32 v32, v32, 0, 8
	v_fmac_f32_e32 v1, v7, v17
	v_cvt_f32_i32_sdwa v7, sext(v34) dst_sel:DWORD dst_unused:UNUSED_PAD src0_sel:WORD_0
	v_bfe_i32 v19, v24, 0, 8
	v_cvt_f32_i32_sdwa v8, sext(v32) dst_sel:DWORD dst_unused:UNUSED_PAD src0_sel:WORD_0
	v_cvt_f32_i32_sdwa v9, sext(v19) dst_sel:DWORD dst_unused:UNUSED_PAD src0_sel:WORD_0
	s_waitcnt vmcnt(0)
	v_mul_f32_e32 v6, v43, v6
	v_fmac_f32_e32 v6, v42, v7
	v_lshrrev_b32_e32 v27, 8, v25
	v_fmac_f32_e32 v6, v44, v8
	v_bfe_i32 v27, v27, 0, 8
	v_fmac_f32_e32 v6, v45, v9
	v_bfe_i32 v24, v25, 0, 8
	v_lshrrev_b32_e32 v29, 16, v25
	v_fmac_f32_e32 v1, v6, v17
	v_cvt_f32_i32_sdwa v6, sext(v27) dst_sel:DWORD dst_unused:UNUSED_PAD src0_sel:WORD_0
	v_bfe_i32 v29, v29, 0, 8
	v_lshrrev_b32_e32 v25, 24, v25
	v_cvt_f32_i32_sdwa v7, sext(v24) dst_sel:DWORD dst_unused:UNUSED_PAD src0_sel:WORD_0
	v_bfe_i32 v25, v25, 0, 8
	v_cvt_f32_i32_sdwa v8, sext(v29) dst_sel:DWORD dst_unused:UNUSED_PAD src0_sel:WORD_0
	v_cvt_f32_i32_sdwa v9, sext(v25) dst_sel:DWORD dst_unused:UNUSED_PAD src0_sel:WORD_0
	v_mul_f32_e32 v3, v3, v6
	v_fmac_f32_e32 v3, v2, v7
	v_fmac_f32_e32 v3, v4, v8
	;; [unrolled: 1-line block ×3, first 2 shown]
	v_add_co_u32_e32 v12, vcc, s20, v12
	v_fmac_f32_e32 v1, v3, v17
	v_addc_co_u32_e32 v13, vcc, v13, v15, vcc
	s_andn2_b64 exec, exec, s[0:1]
	s_cbranch_execz .LBB29_14
.LBB29_6:                               ; =>This Inner Loop Header: Depth=1
	global_load_ushort v2, v[10:11], off offset:-33
	s_waitcnt vmcnt(0)
	v_lshrrev_b16_e32 v4, 8, v2
	v_perm_b32 v2, v4, v2, s21
	v_lshrrev_b32_e32 v3, 7, v4
	v_bfe_u32 v4, v4, 2, 5
	v_cmp_lt_i32_e32 vcc, 30, v4
	v_lshlrev_b32_e32 v17, 31, v3
	s_and_saveexec_b64 s[2:3], vcc
	s_xor_b64 s[2:3], exec, s[2:3]
; %bb.7:                                ;   in Loop: Header=BB29_6 Depth=1
	v_lshlrev_b32_e32 v3, 31, v3
	v_lshlrev_b32_e32 v2, 13, v2
	v_or3_b32 v17, v2, v3, s22
                                        ; implicit-def: $vgpr2
                                        ; implicit-def: $vgpr4
                                        ; implicit-def: $vgpr3
; %bb.8:                                ;   in Loop: Header=BB29_6 Depth=1
	s_andn2_saveexec_b64 s[2:3], s[2:3]
	s_cbranch_execz .LBB29_5
; %bb.9:                                ;   in Loop: Header=BB29_6 Depth=1
	v_and_b32_e32 v5, 0x3ff, v2
	v_cmp_ne_u32_e32 vcc, 0, v4
	s_and_saveexec_b64 s[14:15], vcc
	s_xor_b64 s[14:15], exec, s[14:15]
; %bb.10:                               ;   in Loop: Header=BB29_6 Depth=1
	v_lshlrev_b32_e32 v2, 31, v3
	v_lshlrev_b32_e32 v3, 23, v4
	;; [unrolled: 1-line block ×3, first 2 shown]
	v_or3_b32 v2, v3, v2, v4
	v_add_u32_e32 v17, 0x38000000, v2
                                        ; implicit-def: $vgpr5
                                        ; implicit-def: $vgpr2
                                        ; implicit-def: $vgpr3
; %bb.11:                               ;   in Loop: Header=BB29_6 Depth=1
	s_andn2_saveexec_b64 s[14:15], s[14:15]
	s_cbranch_execz .LBB29_4
; %bb.12:                               ;   in Loop: Header=BB29_6 Depth=1
	v_cmp_ne_u32_e32 vcc, 0, v5
	s_and_saveexec_b64 s[16:17], vcc
	s_xor_b64 s[16:17], exec, s[16:17]
	s_cbranch_execz .LBB29_3
; %bb.13:                               ;   in Loop: Header=BB29_6 Depth=1
	v_ffbh_u32_e32 v4, v5
	v_xor_b32_e32 v5, 31, v4
	v_sub_u32_e32 v5, 9, v5
	v_lshlrev_b32_e32 v2, v5, v2
	v_lshlrev_b32_e32 v3, 31, v3
	;; [unrolled: 1-line block ×4, first 2 shown]
	v_and_or_b32 v2, v2, s23, v3
	v_sub_u32_e32 v2, v2, v4
	v_add_u32_e32 v17, 0x43000000, v2
	s_branch .LBB29_3
.LBB29_14:
	s_or_b64 exec, exec, s[0:1]
.LBB29_15:
	s_or_b64 exec, exec, s[12:13]
	v_mbcnt_lo_u32_b32 v2, -1, 0
	v_mbcnt_hi_u32_b32 v4, -1, v2
	v_and_b32_e32 v6, 63, v4
	v_cmp_gt_u32_e32 vcc, 48, v6
	v_cndmask_b32_e64 v2, 0, 1, vcc
	v_lshlrev_b32_e32 v2, 4, v2
	v_add_lshl_u32 v2, v2, v4, 2
	ds_bpermute_b32 v3, v2, v1
	v_cmp_gt_u32_e32 vcc, 56, v6
	v_cndmask_b32_e64 v5, 0, 1, vcc
	v_lshlrev_b32_e32 v5, 3, v5
	v_cmp_gt_u32_e32 vcc, 60, v6
	s_waitcnt lgkmcnt(0)
	v_add_f32_e32 v3, v1, v3
	v_add_lshl_u32 v1, v5, v4, 2
	ds_bpermute_b32 v5, v1, v3
	v_cndmask_b32_e64 v7, 0, 1, vcc
	v_lshlrev_b32_e32 v7, 2, v7
	v_cmp_gt_u32_e32 vcc, 62, v6
	v_cndmask_b32_e64 v8, 0, 1, vcc
	s_waitcnt lgkmcnt(0)
	v_add_f32_e32 v5, v3, v5
	v_add_lshl_u32 v3, v7, v4, 2
	ds_bpermute_b32 v7, v3, v5
	v_lshlrev_b32_e32 v8, 1, v8
	v_cmp_ne_u32_e32 vcc, 63, v6
	v_addc_co_u32_e32 v6, vcc, 0, v4, vcc
	s_waitcnt lgkmcnt(0)
	v_add_f32_e32 v7, v5, v7
	v_add_lshl_u32 v5, v8, v4, 2
	ds_bpermute_b32 v8, v5, v7
	v_lshlrev_b32_e32 v6, 2, v6
	s_waitcnt lgkmcnt(0)
	v_add_f32_e32 v4, v7, v8
	ds_bpermute_b32 v8, v6, v4
	v_and_b32_e32 v7, 31, v0
	v_cmp_eq_u32_e32 vcc, 0, v7
	s_and_saveexec_b64 s[0:1], vcc
	s_cbranch_execz .LBB29_17
; %bb.16:
	s_waitcnt lgkmcnt(0)
	v_add_f32_e32 v4, v4, v8
	v_lshrrev_b32_e32 v8, 3, v0
	ds_write_b32 v8, v4
.LBB29_17:
	s_or_b64 exec, exec, s[0:1]
	s_waitcnt lgkmcnt(0)
	s_barrier
	s_load_dword s0, s[4:5], 0x3c
	v_mov_b32_e32 v4, 0
	s_waitcnt lgkmcnt(0)
	s_and_b32 s0, s0, 0xffff
	s_add_i32 s0, s0, 31
	s_lshr_b32 s0, s0, 5
	v_cmp_gt_u32_e32 vcc, s0, v0
	s_and_saveexec_b64 s[0:1], vcc
	s_cbranch_execz .LBB29_19
; %bb.18:
	v_lshlrev_b32_e32 v4, 2, v7
	ds_read_b32 v4, v4
.LBB29_19:
	s_or_b64 exec, exec, s[0:1]
	v_cmp_gt_u32_e32 vcc, 32, v0
	s_and_saveexec_b64 s[0:1], vcc
	s_cbranch_execz .LBB29_21
; %bb.20:
	s_waitcnt lgkmcnt(0)
	ds_bpermute_b32 v2, v2, v4
	s_waitcnt lgkmcnt(0)
	v_add_f32_e32 v2, v4, v2
	ds_bpermute_b32 v1, v1, v2
	s_waitcnt lgkmcnt(0)
	v_add_f32_e32 v1, v2, v1
	;; [unrolled: 3-line block ×5, first 2 shown]
.LBB29_21:
	s_or_b64 exec, exec, s[0:1]
	s_mov_b32 s1, 0
	v_cmp_eq_u32_e32 vcc, 0, v0
	s_and_saveexec_b64 s[2:3], vcc
	s_cbranch_execz .LBB29_25
; %bb.22:
	s_lshr_b32 s0, s8, 2
	s_add_i32 s0, s0, s6
	s_lshl_b64 s[0:1], s[0:1], 2
	s_add_u32 s0, s10, s0
	s_addc_u32 s1, s11, s1
	s_cmp_eq_u32 s9, 0
	s_cbranch_scc1 .LBB29_24
; %bb.23:
	s_load_dword s2, s[0:1], 0x0
	s_waitcnt lgkmcnt(0)
	v_add_f32_e32 v4, s2, v4
.LBB29_24:
	v_mov_b32_e32 v0, 0
	s_waitcnt lgkmcnt(0)
	global_store_dword v0, v4, s[0:1]
.LBB29_25:
	s_endpgm
	.section	.rodata,"a",@progbits
	.p2align	6, 0x0
	.amdhsa_kernel dmmv_q8_0_fast
		.amdhsa_group_segment_fixed_size 128
		.amdhsa_private_segment_fixed_size 0
		.amdhsa_kernarg_size 304
		.amdhsa_user_sgpr_count 6
		.amdhsa_user_sgpr_private_segment_buffer 1
		.amdhsa_user_sgpr_dispatch_ptr 0
		.amdhsa_user_sgpr_queue_ptr 0
		.amdhsa_user_sgpr_kernarg_segment_ptr 1
		.amdhsa_user_sgpr_dispatch_id 0
		.amdhsa_user_sgpr_flat_scratch_init 0
		.amdhsa_user_sgpr_kernarg_preload_length 0
		.amdhsa_user_sgpr_kernarg_preload_offset 0
		.amdhsa_user_sgpr_private_segment_size 0
		.amdhsa_uses_dynamic_stack 0
		.amdhsa_system_sgpr_private_segment_wavefront_offset 0
		.amdhsa_system_sgpr_workgroup_id_x 1
		.amdhsa_system_sgpr_workgroup_id_y 0
		.amdhsa_system_sgpr_workgroup_id_z 0
		.amdhsa_system_sgpr_workgroup_info 0
		.amdhsa_system_vgpr_workitem_id 0
		.amdhsa_next_free_vgpr 60
		.amdhsa_next_free_sgpr 24
		.amdhsa_accum_offset 60
		.amdhsa_reserve_vcc 1
		.amdhsa_reserve_flat_scratch 0
		.amdhsa_float_round_mode_32 0
		.amdhsa_float_round_mode_16_64 0
		.amdhsa_float_denorm_mode_32 3
		.amdhsa_float_denorm_mode_16_64 3
		.amdhsa_dx10_clamp 1
		.amdhsa_ieee_mode 1
		.amdhsa_fp16_overflow 0
		.amdhsa_tg_split 0
		.amdhsa_exception_fp_ieee_invalid_op 0
		.amdhsa_exception_fp_denorm_src 0
		.amdhsa_exception_fp_ieee_div_zero 0
		.amdhsa_exception_fp_ieee_overflow 0
		.amdhsa_exception_fp_ieee_underflow 0
		.amdhsa_exception_fp_ieee_inexact 0
		.amdhsa_exception_int_div_zero 0
	.end_amdhsa_kernel
	.text
.Lfunc_end29:
	.size	dmmv_q8_0_fast, .Lfunc_end29-dmmv_q8_0_fast
                                        ; -- End function
	.section	.AMDGPU.csdata,"",@progbits
; Kernel info:
; codeLenInByte = 1888
; NumSgprs: 28
; NumVgprs: 60
; NumAgprs: 0
; TotalNumVgprs: 60
; ScratchSize: 0
; MemoryBound: 0
; FloatMode: 240
; IeeeMode: 1
; LDSByteSize: 128 bytes/workgroup (compile time only)
; SGPRBlocks: 3
; VGPRBlocks: 7
; NumSGPRsForWavesPerEU: 28
; NumVGPRsForWavesPerEU: 60
; AccumOffset: 60
; Occupancy: 8
; WaveLimiterHint : 0
; COMPUTE_PGM_RSRC2:SCRATCH_EN: 0
; COMPUTE_PGM_RSRC2:USER_SGPR: 6
; COMPUTE_PGM_RSRC2:TRAP_HANDLER: 0
; COMPUTE_PGM_RSRC2:TGID_X_EN: 1
; COMPUTE_PGM_RSRC2:TGID_Y_EN: 0
; COMPUTE_PGM_RSRC2:TGID_Z_EN: 0
; COMPUTE_PGM_RSRC2:TIDIG_COMP_CNT: 0
; COMPUTE_PGM_RSRC3_GFX90A:ACCUM_OFFSET: 14
; COMPUTE_PGM_RSRC3_GFX90A:TG_SPLIT: 0
	.text
	.protected	dmmv_q4k_mr2            ; -- Begin function dmmv_q4k_mr2
	.globl	dmmv_q4k_mr2
	.p2align	8
	.type	dmmv_q4k_mr2,@function
dmmv_q4k_mr2:                           ; @dmmv_q4k_mr2
; %bb.0:
	s_load_dword s18, s[4:5], 0x18
	s_add_u32 s16, s4, 24
	s_addc_u32 s17, s5, 0
	s_lshl_b32 s19, s6, 1
	s_waitcnt lgkmcnt(0)
	s_cmp_ge_u32 s19, s18
	s_cbranch_scc1 .LBB30_73
; %bb.1:
	s_load_dword s7, s[4:5], 0x3c
	s_load_dwordx4 s[8:11], s[4:5], 0x1c
	s_load_dwordx2 s[12:13], s[4:5], 0x10
	s_load_dwordx4 s[0:3], s[4:5], 0x0
	s_load_dwordx2 s[14:15], s[16:17], 0x10
	v_lshrrev_b32_e32 v19, 4, v0
	s_waitcnt lgkmcnt(0)
	s_lshr_b32 s21, s8, 8
	s_and_b32 s20, s7, 0xffff
	v_cmp_gt_u32_e32 vcc, s21, v19
	v_mov_b32_e32 v1, 0
	v_mov_b32_e32 v25, 0
	s_and_saveexec_b64 s[4:5], vcc
	s_cbranch_execz .LBB30_51
; %bb.2:
	s_lshr_b32 s22, s20, 4
	s_and_b32 s7, s10, -4
	s_add_u32 s23, s2, s7
	v_bfe_u32 v1, v0, 3, 1
	v_lshlrev_b32_e32 v2, 3, v0
	s_addc_u32 s8, s3, 0
	s_lshr_b32 s7, s9, 2
	s_or_b32 s2, s19, 1
	v_and_b32_e32 v2, 24, v2
	v_lshlrev_b32_e32 v3, 6, v1
	v_and_b32_e32 v4, 4, v0
	v_lshlrev_b32_e32 v18, 4, v1
	v_lshlrev_b32_e32 v1, 5, v1
	s_cmp_lt_u32 s2, s18
	s_cselect_b64 s[2:3], -1, 0
	v_or3_b32 v1, v1, v2, v4
	s_add_i32 s9, s19, 1
	v_lshrrev_b32_e32 v1, 2, v1
	s_mul_i32 s9, s21, s9
	s_mul_i32 s6, s6, s21
	v_add_u32_e32 v1, s7, v1
	s_mul_i32 s9, s9, 36
	s_mulk_i32 s6, 0x48
	v_add_u32_e32 v32, s9, v1
	v_add_u32_e32 v33, s6, v1
	v_lshl_or_b32 v1, v19, 8, v3
	v_mul_u32_u24_e32 v27, 36, v19
	s_mul_i32 s24, s22, 36
	s_add_i32 s25, s7, s9
	s_add_i32 s26, s7, s6
	v_or3_b32 v34, v1, v2, v4
	s_lshl_b32 s27, s22, 8
	s_mov_b64 s[6:7], 0
	v_mov_b32_e32 v21, 0
	v_mov_b32_e32 v35, s8
	;; [unrolled: 1-line block ×3, first 2 shown]
	s_mov_b32 s28, 0x7f800000
	s_movk_i32 s29, 0x3ff
	s_mov_b32 s30, 0x7fc000
	v_mov_b32_e32 v23, 0
	v_mov_b32_e32 v37, 13
	;; [unrolled: 1-line block ×5, first 2 shown]
	s_branch .LBB30_7
.LBB30_3:                               ;   in Loop: Header=BB30_7 Depth=1
	s_andn2_saveexec_b64 s[16:17], s[16:17]
	s_or_b64 exec, exec, s[16:17]
.LBB30_4:                               ;   in Loop: Header=BB30_7 Depth=1
	s_or_b64 exec, exec, s[10:11]
.LBB30_5:                               ;   in Loop: Header=BB30_7 Depth=1
	s_or_b64 exec, exec, s[8:9]
	v_add_u32_e32 v20, 1, v22
	v_lshlrev_b64 v[44:45], 2, v[20:21]
	v_mov_b32_e32 v13, s1
	v_add_co_u32_e32 v44, vcc, s0, v44
	v_add_u32_e32 v20, 2, v22
	v_addc_co_u32_e32 v45, vcc, v13, v45, vcc
	v_lshlrev_b64 v[46:47], 2, v[20:21]
	v_add_co_u32_e32 v46, vcc, s0, v46
	v_add_u32_e32 v20, 3, v22
	v_addc_co_u32_e32 v47, vcc, v13, v47, vcc
	global_load_dword v17, v[44:45], off
	global_load_dword v48, v[46:47], off
	v_lshlrev_b64 v[44:45], 2, v[20:21]
	v_add_co_u32_e32 v44, vcc, s0, v44
	v_add_u32_e32 v46, v27, v32
	v_addc_co_u32_e32 v45, vcc, v13, v45, vcc
	v_add_u32_e32 v20, 4, v46
	global_load_dword v22, v[44:45], off
	v_lshlrev_b64 v[44:45], 2, v[20:21]
	v_add_co_u32_e32 v44, vcc, s0, v44
	v_addc_co_u32_e32 v45, vcc, v13, v45, vcc
	global_load_dword v49, v[44:45], off
	v_add_u32_e32 v20, 20, v46
	v_lshlrev_b64 v[44:45], 2, v[20:21]
	v_add_co_u32_e32 v44, vcc, s0, v44
	v_addc_co_u32_e32 v45, vcc, v13, v45, vcc
	global_load_dword v20, v[44:45], off
	s_waitcnt vmcnt(4)
	v_lshrrev_b32_e32 v13, v18, v17
	v_bfe_u32 v17, v17, v18, 6
	s_waitcnt vmcnt(3)
	v_lshrrev_b32_e32 v46, v18, v48
	v_bfe_u32 v44, v13, 8, 6
	v_cvt_f32_ubyte0_e32 v45, v17
	v_bfe_u32 v17, v48, v18, 6
	v_lshrrev_b32_e32 v56, 10, v13
	v_lshrrev_b32_e32 v13, 2, v13
	v_cvt_f32_ubyte0_e32 v44, v44
	v_bfe_u32 v48, v46, 8, 6
	v_cvt_f32_ubyte0_e32 v47, v17
	s_waitcnt vmcnt(2)
	v_lshrrev_b32_e32 v17, v18, v22
	v_and_b32_e32 v13, 48, v13
	v_lshrrev_b32_e32 v22, 2, v46
	v_lshrrev_b32_e32 v57, 10, v46
	v_pk_mul_f32 v[44:45], v[12:13], v[44:45] op_sel_hi:[0,1]
	v_cvt_f32_ubyte0_e32 v46, v48
	s_waitcnt vmcnt(1)
	v_and_b32_e32 v50, 15, v49
	v_bfe_u32 v52, v49, 12, 4
	v_bfe_u32 v51, v49, 8, 4
	;; [unrolled: 1-line block ×3, first 2 shown]
	v_and_or_b32 v13, v17, 15, v13
	v_bfe_u32 v60, v17, 12, 4
	v_lshrrev_b32_e32 v17, 4, v17
	v_bfe_u32 v54, v49, 24, 4
	v_lshrrev_b32_e32 v58, 28, v49
	v_bfe_u32 v48, v49, 4, 4
	v_bfe_u32 v55, v49, 20, 4
	;; [unrolled: 1-line block ×3, first 2 shown]
	v_pk_mul_f32 v[46:47], v[16:17], v[46:47] op_sel_hi:[0,1]
	v_cvt_f32_ubyte0_e32 v49, v50
	v_cvt_f32_ubyte0_e32 v51, v51
	;; [unrolled: 1-line block ×8, first 2 shown]
	v_pk_fma_f32 v[50:51], v[44:45], v[50:51], v[46:47] neg_lo:[0,0,1] neg_hi:[0,0,1]
	v_pk_fma_f32 v[48:49], v[44:45], v[48:49], v[46:47] neg_lo:[0,0,1] neg_hi:[0,0,1]
	;; [unrolled: 1-line block ×4, first 2 shown]
	v_pk_mul_f32 v[46:47], v[6:7], v[50:51]
	v_pk_fma_f32 v[46:47], v[30:31], v[48:49], v[46:47]
	v_and_or_b32 v59, v56, 48, v59
	v_cvt_f32_ubyte0_e32 v56, v13
	v_and_or_b32 v13, v57, 48, v60
	v_pk_fma_f32 v[46:47], v[28:29], v[52:53], v[46:47]
	v_and_b32_e32 v22, 48, v22
	v_cvt_f32_ubyte0_e32 v57, v59
	v_cvt_f32_ubyte0_e32 v13, v13
	v_pk_fma_f32 v[44:45], v[8:9], v[44:45], v[46:47]
	v_and_or_b32 v17, v17, 15, v22
	v_pk_mul_f32 v[50:51], v[12:13], v[56:57] op_sel_hi:[0,1]
	v_add_f32_e32 v12, 0, v45
	v_add_f32_e32 v22, v44, v12
	v_cvt_f32_ubyte0_e32 v12, v17
	s_waitcnt vmcnt(0)
	v_bfe_u32 v44, v20, 8, 4
	v_bfe_u32 v45, v20, 12, 4
	v_pk_mul_f32 v[12:13], v[16:17], v[12:13] op_sel_hi:[0,1]
	v_and_b32_e32 v16, 15, v20
	v_bfe_u32 v17, v20, 4, 4
	v_cvt_f32_ubyte0_e32 v45, v45
	v_cvt_f32_ubyte0_e32 v44, v44
	;; [unrolled: 1-line block ×4, first 2 shown]
	v_pk_fma_f32 v[44:45], v[50:51], v[44:45], v[12:13] neg_lo:[0,0,1] neg_hi:[0,0,1]
	v_pk_fma_f32 v[16:17], v[50:51], v[16:17], v[12:13] neg_lo:[0,0,1] neg_hi:[0,0,1]
	v_pk_mul_f32 v[44:45], v[2:3], v[44:45]
	v_bfe_u32 v58, v20, 24, 4
	v_lshrrev_b32_e32 v61, 28, v20
	v_pk_fma_f32 v[16:17], v[14:15], v[16:17], v[44:45]
	v_bfe_u32 v44, v20, 16, 4
	v_bfe_u32 v20, v20, 20, 4
	v_cvt_f32_ubyte0_e32 v45, v20
	v_cvt_f32_ubyte0_e32 v44, v44
	v_pk_fma_f32 v[44:45], v[50:51], v[44:45], v[12:13] neg_lo:[0,0,1] neg_hi:[0,0,1]
	v_pk_fma_f32 v[16:17], v[10:11], v[44:45], v[16:17]
	v_cvt_f32_ubyte0_e32 v45, v61
	v_cvt_f32_ubyte0_e32 v44, v58
	v_pk_fma_f32 v[12:13], v[50:51], v[44:45], v[12:13] neg_lo:[0,0,1] neg_hi:[0,0,1]
	v_pk_fma_f32 v[12:13], v[4:5], v[12:13], v[16:17]
	v_add_f32_e32 v12, v12, v22
	v_add_f32_e32 v12, v13, v12
	;; [unrolled: 1-line block ×3, first 2 shown]
.LBB30_6:                               ;   in Loop: Header=BB30_7 Depth=1
	s_waitcnt vmcnt(4)
	v_lshrrev_b32_e32 v46, v18, v43
	s_waitcnt vmcnt(3)
	v_lshrrev_b32_e32 v47, v18, v42
	v_bfe_u32 v12, v46, 8, 6
	v_bfe_u32 v13, v43, v18, 6
	;; [unrolled: 1-line block ×4, first 2 shown]
	v_cvt_f32_ubyte0_e32 v13, v13
	v_cvt_f32_ubyte0_e32 v12, v12
	;; [unrolled: 1-line block ×4, first 2 shown]
	s_waitcnt vmcnt(1)
	v_bfe_u32 v44, v41, 12, 4
	v_bfe_u32 v45, v41, 8, 4
	v_pk_mul_f32 v[12:13], v[24:25], v[12:13] op_sel_hi:[0,1]
	v_pk_mul_f32 v[16:17], v[26:27], v[16:17] op_sel_hi:[0,1]
	v_bfe_u32 v42, v41, 4, 4
	v_and_b32_e32 v43, 15, v41
	v_cvt_f32_ubyte0_e32 v45, v45
	v_cvt_f32_ubyte0_e32 v44, v44
	;; [unrolled: 1-line block ×4, first 2 shown]
	v_pk_fma_f32 v[44:45], v[12:13], v[44:45], v[16:17] neg_lo:[0,0,1] neg_hi:[0,0,1]
	v_pk_fma_f32 v[42:43], v[12:13], v[42:43], v[16:17] neg_lo:[0,0,1] neg_hi:[0,0,1]
	v_pk_mul_f32 v[6:7], v[6:7], v[44:45]
	v_pk_fma_f32 v[6:7], v[30:31], v[42:43], v[6:7]
	v_bfe_u32 v30, v41, 20, 4
	v_bfe_u32 v31, v41, 16, 4
	v_cvt_f32_ubyte0_e32 v31, v31
	v_cvt_f32_ubyte0_e32 v30, v30
	v_bfe_u32 v20, v41, 24, 4
	v_lshrrev_b32_e32 v22, 28, v41
	v_pk_fma_f32 v[30:31], v[12:13], v[30:31], v[16:17] neg_lo:[0,0,1] neg_hi:[0,0,1]
	v_pk_fma_f32 v[6:7], v[28:29], v[30:31], v[6:7]
	v_cvt_f32_ubyte0_e32 v29, v20
	v_cvt_f32_ubyte0_e32 v28, v22
	v_pk_fma_f32 v[12:13], v[12:13], v[28:29], v[16:17] neg_lo:[0,0,1] neg_hi:[0,0,1]
	v_pk_fma_f32 v[6:7], v[8:9], v[12:13], v[6:7]
	v_add_f32_e32 v7, 0, v7
	v_add_f32_e32 v20, v6, v7
	v_lshrrev_b32_e32 v8, v18, v40
	v_lshrrev_b32_e32 v7, 2, v46
	;; [unrolled: 1-line block ×3, first 2 shown]
	v_bfe_u32 v9, v8, 8, 4
	v_and_b32_e32 v7, 48, v7
	v_and_or_b32 v12, v8, 15, v7
	v_and_or_b32 v6, v6, 48, v9
	v_lshrrev_b32_e32 v9, 2, v47
	v_cvt_f32_ubyte0_e32 v7, v6
	v_cvt_f32_ubyte0_e32 v6, v12
	v_bfe_u32 v12, v8, 12, 4
	v_and_b32_e32 v9, 48, v9
	v_lshrrev_b32_e32 v13, 10, v47
	v_lshrrev_b32_e32 v8, 4, v8
	v_and_or_b32 v8, v8, 15, v9
	v_and_or_b32 v9, v13, 48, v12
	v_cvt_f32_ubyte0_e32 v9, v9
	v_cvt_f32_ubyte0_e32 v8, v8
	s_waitcnt vmcnt(0)
	v_bfe_u32 v16, v39, 8, 4
	v_bfe_u32 v17, v39, 12, 4
	v_pk_mul_f32 v[6:7], v[24:25], v[6:7] op_sel_hi:[0,1]
	v_pk_mul_f32 v[8:9], v[26:27], v[8:9] op_sel_hi:[0,1]
	v_and_b32_e32 v12, 15, v39
	v_bfe_u32 v13, v39, 4, 4
	v_cvt_f32_ubyte0_e32 v17, v17
	v_cvt_f32_ubyte0_e32 v16, v16
	;; [unrolled: 1-line block ×4, first 2 shown]
	v_pk_fma_f32 v[16:17], v[6:7], v[16:17], v[8:9] neg_lo:[0,0,1] neg_hi:[0,0,1]
	v_pk_fma_f32 v[12:13], v[6:7], v[12:13], v[8:9] neg_lo:[0,0,1] neg_hi:[0,0,1]
	v_pk_mul_f32 v[2:3], v[2:3], v[16:17]
	v_pk_fma_f32 v[2:3], v[14:15], v[12:13], v[2:3]
	v_bfe_u32 v12, v39, 16, 4
	v_bfe_u32 v13, v39, 20, 4
	v_cvt_f32_ubyte0_e32 v13, v13
	v_cvt_f32_ubyte0_e32 v12, v12
	v_bfe_u32 v22, v39, 24, 4
	v_lshrrev_b32_e32 v28, 28, v39
	v_pk_fma_f32 v[12:13], v[6:7], v[12:13], v[8:9] neg_lo:[0,0,1] neg_hi:[0,0,1]
	v_pk_fma_f32 v[2:3], v[10:11], v[12:13], v[2:3]
	v_cvt_f32_ubyte0_e32 v11, v28
	v_cvt_f32_ubyte0_e32 v10, v22
	v_pk_fma_f32 v[6:7], v[6:7], v[10:11], v[8:9] neg_lo:[0,0,1] neg_hi:[0,0,1]
	v_pk_fma_f32 v[2:3], v[4:5], v[6:7], v[2:3]
	v_add_f32_e32 v2, v2, v20
	v_add_u32_e32 v19, s22, v19
	v_add_f32_e32 v2, v3, v2
	s_add_i32 s25, s25, s24
	s_add_i32 s26, s26, s24
	v_cmp_le_u32_e32 vcc, s21, v19
	v_add_f32_e32 v25, v25, v2
	v_add_u32_e32 v32, s24, v32
	v_add_u32_e32 v33, s24, v33
	s_or_b64 s[6:7], vcc, s[6:7]
	v_add_u32_e32 v34, s27, v34
	s_andn2_b64 exec, exec, s[6:7]
	s_cbranch_execz .LBB30_50
.LBB30_7:                               ; =>This Inner Loop Header: Depth=1
	v_lshrrev_b32_e32 v20, 2, v34
	v_lshlrev_b64 v[2:3], 4, v[20:21]
	v_add_co_u32_e32 v30, vcc, s23, v2
	v_add_u32_e32 v28, s26, v27
	v_mov_b32_e32 v29, v21
	v_addc_co_u32_e32 v31, vcc, v35, v3, vcc
	v_lshlrev_b64 v[2:3], 2, v[28:29]
	v_add_co_u32_e32 v40, vcc, s0, v2
	v_addc_co_u32_e32 v41, vcc, v36, v3, vcc
	global_load_dword v20, v[40:41], off
	global_load_dwordx4 v[6:9], v[30:31], off
	global_load_dwordx4 v[14:17], v[30:31], off offset:128
	global_load_dwordx4 v[10:13], v[30:31], off offset:512
	;; [unrolled: 1-line block ×3, first 2 shown]
                                        ; implicit-def: $vgpr24
	s_waitcnt vmcnt(4)
	v_bfe_u32 v26, v20, 10, 5
	v_bfe_u32 v22, v20, 15, 1
	v_cmp_lt_i32_e32 vcc, 30, v26
	s_and_saveexec_b64 s[8:9], vcc
	s_xor_b64 s[8:9], exec, s[8:9]
; %bb.8:                                ;   in Loop: Header=BB30_7 Depth=1
	v_lshlrev_b32_e32 v22, 31, v22
	v_lshlrev_b32_sdwa v24, v37, v20 dst_sel:DWORD dst_unused:UNUSED_PAD src0_sel:DWORD src1_sel:WORD_0
	v_or3_b32 v24, v22, v24, s28
                                        ; implicit-def: $vgpr26
                                        ; implicit-def: $vgpr22
; %bb.9:                                ;   in Loop: Header=BB30_7 Depth=1
	s_andn2_saveexec_b64 s[8:9], s[8:9]
	s_cbranch_execz .LBB30_19
; %bb.10:                               ;   in Loop: Header=BB30_7 Depth=1
	v_and_b32_e32 v29, 0x3ff, v20
	v_cmp_ne_u32_e32 vcc, 0, v26
                                        ; implicit-def: $vgpr24
	s_and_saveexec_b64 s[10:11], vcc
	s_xor_b64 s[10:11], exec, s[10:11]
; %bb.11:                               ;   in Loop: Header=BB30_7 Depth=1
	v_lshlrev_b32_e32 v22, 31, v22
	v_lshlrev_b32_e32 v24, 23, v26
	;; [unrolled: 1-line block ×3, first 2 shown]
	v_or3_b32 v22, v24, v22, v26
	v_add_u32_e32 v24, 0x38000000, v22
                                        ; implicit-def: $vgpr22
                                        ; implicit-def: $vgpr29
; %bb.12:                               ;   in Loop: Header=BB30_7 Depth=1
	s_andn2_saveexec_b64 s[10:11], s[10:11]
	s_cbranch_execz .LBB30_18
; %bb.13:                               ;   in Loop: Header=BB30_7 Depth=1
	v_cmp_ne_u32_e32 vcc, 0, v29
                                        ; implicit-def: $vgpr24
	s_and_saveexec_b64 s[16:17], vcc
	s_xor_b64 s[16:17], exec, s[16:17]
; %bb.14:                               ;   in Loop: Header=BB30_7 Depth=1
	v_ffbh_u32_e32 v24, v29
	v_xor_b32_e32 v26, 31, v24
	v_sub_u32_e32 v26, 9, v26
	v_lshlrev_b32_e32 v26, v26, v20
	v_lshl_or_b32 v22, v22, 31, v38
	v_lshlrev_b32_e32 v24, 23, v24
	v_lshlrev_b32_e32 v26, 14, v26
	v_sub_u32_e32 v22, v22, v24
	v_and_or_b32 v24, v26, s30, v22
                                        ; implicit-def: $vgpr22
; %bb.15:                               ;   in Loop: Header=BB30_7 Depth=1
	s_andn2_saveexec_b64 s[16:17], s[16:17]
; %bb.16:                               ;   in Loop: Header=BB30_7 Depth=1
	v_lshlrev_b32_e32 v24, 31, v22
; %bb.17:                               ;   in Loop: Header=BB30_7 Depth=1
	s_or_b64 exec, exec, s[16:17]
.LBB30_18:                              ;   in Loop: Header=BB30_7 Depth=1
	s_or_b64 exec, exec, s[10:11]
.LBB30_19:                              ;   in Loop: Header=BB30_7 Depth=1
	s_or_b64 exec, exec, s[8:9]
	v_bfe_u32 v22, v20, 26, 5
	v_cmp_lt_i32_e32 vcc, 30, v22
	v_and_b32_e32 v26, 0x80000000, v20
	s_and_saveexec_b64 s[8:9], vcc
	s_xor_b64 s[8:9], exec, s[8:9]
; %bb.20:                               ;   in Loop: Header=BB30_7 Depth=1
	v_and_b32_e32 v22, 0x80000000, v20
	v_lshlrev_b32_sdwa v20, v37, v20 dst_sel:DWORD dst_unused:UNUSED_PAD src0_sel:DWORD src1_sel:WORD_1
	v_or3_b32 v26, v20, v22, s28
                                        ; implicit-def: $vgpr20
                                        ; implicit-def: $vgpr22
; %bb.21:                               ;   in Loop: Header=BB30_7 Depth=1
	s_andn2_saveexec_b64 s[8:9], s[8:9]
	s_cbranch_execz .LBB30_29
; %bb.22:                               ;   in Loop: Header=BB30_7 Depth=1
	v_and_b32_sdwa v29, v20, s29 dst_sel:DWORD dst_unused:UNUSED_PAD src0_sel:WORD_1 src1_sel:DWORD
	v_cmp_ne_u32_e32 vcc, 0, v22
	s_and_saveexec_b64 s[10:11], vcc
	s_xor_b64 s[10:11], exec, s[10:11]
; %bb.23:                               ;   in Loop: Header=BB30_7 Depth=1
	v_and_b32_e32 v20, 0x80000000, v20
	v_lshlrev_b32_e32 v22, 23, v22
	v_lshlrev_b32_e32 v26, 13, v29
	v_or3_b32 v20, v22, v20, v26
	v_add_u32_e32 v26, 0x38000000, v20
                                        ; implicit-def: $vgpr29
                                        ; implicit-def: $vgpr20
; %bb.24:                               ;   in Loop: Header=BB30_7 Depth=1
	s_andn2_saveexec_b64 s[10:11], s[10:11]
	s_cbranch_execz .LBB30_28
; %bb.25:                               ;   in Loop: Header=BB30_7 Depth=1
	v_cmp_ne_u32_e32 vcc, 0, v29
	s_and_saveexec_b64 s[16:17], vcc
	s_xor_b64 s[16:17], exec, s[16:17]
; %bb.26:                               ;   in Loop: Header=BB30_7 Depth=1
	v_ffbh_u32_e32 v22, v29
	v_xor_b32_e32 v26, 31, v22
	v_sub_u32_e32 v26, 9, v26
	v_lshlrev_b32_sdwa v26, v26, v20 dst_sel:DWORD dst_unused:UNUSED_PAD src0_sel:DWORD src1_sel:WORD_1
	v_and_b32_e32 v20, 0x80000000, v20
	v_or_b32_e32 v20, 0x43000000, v20
	v_lshlrev_b32_e32 v22, 23, v22
	v_lshlrev_b32_e32 v26, 14, v26
	v_sub_u32_e32 v20, v20, v22
	v_and_or_b32 v26, v26, s30, v20
; %bb.27:                               ;   in Loop: Header=BB30_7 Depth=1
	s_andn2_saveexec_b64 s[16:17], s[16:17]
	s_or_b64 exec, exec, s[16:17]
.LBB30_28:                              ;   in Loop: Header=BB30_7 Depth=1
	s_or_b64 exec, exec, s[10:11]
.LBB30_29:                              ;   in Loop: Header=BB30_7 Depth=1
	s_or_b64 exec, exec, s[8:9]
	v_add_u32_e32 v20, 1, v28
	v_lshlrev_b64 v[30:31], 2, v[20:21]
	v_mov_b32_e32 v22, s1
	v_add_co_u32_e32 v30, vcc, s0, v30
	v_add_u32_e32 v20, 2, v28
	v_addc_co_u32_e32 v31, vcc, v22, v31, vcc
	v_lshlrev_b64 v[40:41], 2, v[20:21]
	v_add_co_u32_e32 v44, vcc, s0, v40
	v_add_u32_e32 v20, 3, v28
	v_addc_co_u32_e32 v45, vcc, v22, v41, vcc
	v_lshlrev_b64 v[28:29], 2, v[20:21]
	v_add_u32_e32 v39, v27, v33
	v_add_co_u32_e32 v28, vcc, s0, v28
	v_add_u32_e32 v20, 4, v39
	v_addc_co_u32_e32 v29, vcc, v22, v29, vcc
	v_lshlrev_b64 v[40:41], 2, v[20:21]
	v_add_co_u32_e32 v46, vcc, s0, v40
	v_add_u32_e32 v20, 20, v39
	v_addc_co_u32_e32 v47, vcc, v22, v41, vcc
	v_lshlrev_b64 v[40:41], 2, v[20:21]
	v_add_co_u32_e32 v48, vcc, s0, v40
	v_addc_co_u32_e32 v49, vcc, v22, v41, vcc
	global_load_dword v43, v[30:31], off
	global_load_dword v42, v[44:45], off
	;; [unrolled: 1-line block ×5, first 2 shown]
	s_waitcnt vmcnt(7)
	v_mov_b32_e32 v30, v14
	v_mov_b32_e32 v31, v6
	;; [unrolled: 1-line block ×6, first 2 shown]
	s_waitcnt vmcnt(6)
	v_mov_b32_e32 v14, v10
	s_waitcnt vmcnt(5)
	v_mov_b32_e32 v15, v2
	v_mov_b32_e32 v2, v11
	v_mov_b32_e32 v10, v12
	v_mov_b32_e32 v11, v4
	s_andn2_b64 vcc, exec, s[2:3]
	v_mov_b32_e32 v4, v13
	s_cbranch_vccnz .LBB30_6
; %bb.30:                               ;   in Loop: Header=BB30_7 Depth=1
	v_add_u32_e32 v22, s25, v27
	v_lshlrev_b64 v[12:13], 2, v[22:23]
	v_mov_b32_e32 v16, s1
	v_add_co_u32_e32 v12, vcc, s0, v12
	v_addc_co_u32_e32 v13, vcc, v16, v13, vcc
	global_load_dword v13, v[12:13], off
                                        ; implicit-def: $vgpr12
	s_waitcnt vmcnt(0)
	v_bfe_u32 v17, v13, 10, 5
	v_bfe_u32 v16, v13, 15, 1
	v_cmp_lt_i32_e32 vcc, 30, v17
	s_and_saveexec_b64 s[8:9], vcc
	s_xor_b64 s[8:9], exec, s[8:9]
; %bb.31:                               ;   in Loop: Header=BB30_7 Depth=1
	v_lshlrev_b32_e32 v12, 31, v16
	v_lshlrev_b32_sdwa v16, v37, v13 dst_sel:DWORD dst_unused:UNUSED_PAD src0_sel:DWORD src1_sel:WORD_0
	v_or3_b32 v12, v12, v16, s28
                                        ; implicit-def: $vgpr17
                                        ; implicit-def: $vgpr16
; %bb.32:                               ;   in Loop: Header=BB30_7 Depth=1
	s_andn2_saveexec_b64 s[8:9], s[8:9]
	s_cbranch_execz .LBB30_42
; %bb.33:                               ;   in Loop: Header=BB30_7 Depth=1
	v_and_b32_e32 v20, 0x3ff, v13
	v_cmp_ne_u32_e32 vcc, 0, v17
                                        ; implicit-def: $vgpr12
	s_and_saveexec_b64 s[10:11], vcc
	s_xor_b64 s[10:11], exec, s[10:11]
; %bb.34:                               ;   in Loop: Header=BB30_7 Depth=1
	v_lshlrev_b32_e32 v12, 31, v16
	v_lshlrev_b32_e32 v16, 23, v17
	;; [unrolled: 1-line block ×3, first 2 shown]
	v_or3_b32 v12, v16, v12, v17
	v_add_u32_e32 v12, 0x38000000, v12
                                        ; implicit-def: $vgpr16
                                        ; implicit-def: $vgpr20
; %bb.35:                               ;   in Loop: Header=BB30_7 Depth=1
	s_andn2_saveexec_b64 s[10:11], s[10:11]
	s_cbranch_execz .LBB30_41
; %bb.36:                               ;   in Loop: Header=BB30_7 Depth=1
	v_cmp_ne_u32_e32 vcc, 0, v20
                                        ; implicit-def: $vgpr12
	s_and_saveexec_b64 s[16:17], vcc
	s_xor_b64 s[16:17], exec, s[16:17]
; %bb.37:                               ;   in Loop: Header=BB30_7 Depth=1
	v_ffbh_u32_e32 v12, v20
	v_xor_b32_e32 v17, 31, v12
	v_sub_u32_e32 v17, 9, v17
	v_lshlrev_b32_e32 v17, v17, v13
	v_lshl_or_b32 v16, v16, 31, v38
	v_lshlrev_b32_e32 v12, 23, v12
	v_lshlrev_b32_e32 v17, 14, v17
	v_sub_u32_e32 v12, v16, v12
	v_and_or_b32 v12, v17, s30, v12
                                        ; implicit-def: $vgpr16
; %bb.38:                               ;   in Loop: Header=BB30_7 Depth=1
	s_andn2_saveexec_b64 s[16:17], s[16:17]
; %bb.39:                               ;   in Loop: Header=BB30_7 Depth=1
	v_lshlrev_b32_e32 v12, 31, v16
; %bb.40:                               ;   in Loop: Header=BB30_7 Depth=1
	s_or_b64 exec, exec, s[16:17]
.LBB30_41:                              ;   in Loop: Header=BB30_7 Depth=1
	s_or_b64 exec, exec, s[10:11]
.LBB30_42:                              ;   in Loop: Header=BB30_7 Depth=1
	s_or_b64 exec, exec, s[8:9]
	v_bfe_u32 v17, v13, 26, 5
	v_cmp_lt_i32_e32 vcc, 30, v17
	v_and_b32_e32 v16, 0x80000000, v13
	s_and_saveexec_b64 s[8:9], vcc
	s_xor_b64 s[8:9], exec, s[8:9]
; %bb.43:                               ;   in Loop: Header=BB30_7 Depth=1
	v_and_b32_e32 v16, 0x80000000, v13
	v_lshlrev_b32_sdwa v13, v37, v13 dst_sel:DWORD dst_unused:UNUSED_PAD src0_sel:DWORD src1_sel:WORD_1
	v_or3_b32 v16, v13, v16, s28
                                        ; implicit-def: $vgpr13
                                        ; implicit-def: $vgpr17
; %bb.44:                               ;   in Loop: Header=BB30_7 Depth=1
	s_andn2_saveexec_b64 s[8:9], s[8:9]
	s_cbranch_execz .LBB30_5
; %bb.45:                               ;   in Loop: Header=BB30_7 Depth=1
	v_and_b32_sdwa v20, v13, s29 dst_sel:DWORD dst_unused:UNUSED_PAD src0_sel:WORD_1 src1_sel:DWORD
	v_cmp_ne_u32_e32 vcc, 0, v17
	s_and_saveexec_b64 s[10:11], vcc
	s_xor_b64 s[10:11], exec, s[10:11]
; %bb.46:                               ;   in Loop: Header=BB30_7 Depth=1
	v_and_b32_e32 v13, 0x80000000, v13
	v_lshlrev_b32_e32 v16, 23, v17
	v_lshlrev_b32_e32 v17, 13, v20
	v_or3_b32 v13, v16, v13, v17
	v_add_u32_e32 v16, 0x38000000, v13
                                        ; implicit-def: $vgpr20
                                        ; implicit-def: $vgpr13
; %bb.47:                               ;   in Loop: Header=BB30_7 Depth=1
	s_andn2_saveexec_b64 s[10:11], s[10:11]
	s_cbranch_execz .LBB30_4
; %bb.48:                               ;   in Loop: Header=BB30_7 Depth=1
	v_cmp_ne_u32_e32 vcc, 0, v20
	s_and_saveexec_b64 s[16:17], vcc
	s_xor_b64 s[16:17], exec, s[16:17]
	s_cbranch_execz .LBB30_3
; %bb.49:                               ;   in Loop: Header=BB30_7 Depth=1
	v_ffbh_u32_e32 v16, v20
	v_xor_b32_e32 v17, 31, v16
	v_sub_u32_e32 v17, 9, v17
	v_lshlrev_b32_sdwa v17, v17, v13 dst_sel:DWORD dst_unused:UNUSED_PAD src0_sel:DWORD src1_sel:WORD_1
	v_and_b32_e32 v13, 0x80000000, v13
	v_or_b32_e32 v13, 0x43000000, v13
	v_lshlrev_b32_e32 v16, 23, v16
	v_lshlrev_b32_e32 v17, 14, v17
	v_sub_u32_e32 v13, v13, v16
	v_and_or_b32 v16, v17, s30, v13
	s_branch .LBB30_3
.LBB30_50:
	s_or_b64 exec, exec, s[6:7]
.LBB30_51:
	s_or_b64 exec, exec, s[4:5]
	v_mbcnt_lo_u32_b32 v2, -1, 0
	v_mbcnt_hi_u32_b32 v6, -1, v2
	v_and_b32_e32 v7, 63, v6
	v_cmp_gt_u32_e32 vcc, 48, v7
	v_cndmask_b32_e64 v2, 0, 1, vcc
	v_lshlrev_b32_e32 v2, 4, v2
	v_add_lshl_u32 v2, v2, v6, 2
	ds_bpermute_b32 v4, v2, v25
	v_cmp_gt_u32_e32 vcc, 56, v7
	v_cndmask_b32_e64 v3, 0, 1, vcc
	v_lshlrev_b32_e32 v3, 3, v3
	v_add_lshl_u32 v3, v3, v6, 2
	s_waitcnt lgkmcnt(0)
	v_add_f32_e32 v5, v25, v4
	ds_bpermute_b32 v8, v3, v5
	v_cmp_gt_u32_e32 vcc, 60, v7
	v_cndmask_b32_e64 v4, 0, 1, vcc
	v_lshlrev_b32_e32 v4, 2, v4
	v_add_lshl_u32 v4, v4, v6, 2
	s_waitcnt lgkmcnt(0)
	v_add_f32_e32 v8, v5, v8
	;; [unrolled: 7-line block ×3, first 2 shown]
	ds_bpermute_b32 v9, v5, v8
	v_cmp_ne_u32_e32 vcc, 63, v7
	v_addc_co_u32_e32 v6, vcc, 0, v6, vcc
	v_lshlrev_b32_e32 v6, 2, v6
	s_waitcnt lgkmcnt(0)
	v_add_f32_e32 v9, v8, v9
	ds_bpermute_b32 v10, v6, v9
	v_and_b32_e32 v8, 31, v0
	v_cmp_eq_u32_e64 s[2:3], 0, v8
	v_lshrrev_b32_e32 v7, 3, v0
	s_and_saveexec_b64 s[0:1], s[2:3]
	s_cbranch_execz .LBB30_53
; %bb.52:
	s_waitcnt lgkmcnt(0)
	v_add_f32_e32 v9, v9, v10
	ds_write_b32 v7, v9
.LBB30_53:
	s_or_b64 exec, exec, s[0:1]
	s_add_i32 s20, s20, 31
	s_lshr_b32 s0, s20, 5
	v_cmp_gt_u32_e64 s[0:1], s0, v0
	v_lshlrev_b32_e32 v8, 2, v8
	v_mov_b32_e32 v9, 0
	s_waitcnt lgkmcnt(0)
	s_barrier
	s_and_saveexec_b64 s[4:5], s[0:1]
	s_cbranch_execz .LBB30_55
; %bb.54:
	ds_read_b32 v9, v8
.LBB30_55:
	s_or_b64 exec, exec, s[4:5]
	v_cmp_gt_u32_e64 s[4:5], 32, v0
	s_and_saveexec_b64 s[6:7], s[4:5]
	s_cbranch_execz .LBB30_57
; %bb.56:
	s_waitcnt lgkmcnt(0)
	ds_bpermute_b32 v10, v2, v9
	s_waitcnt lgkmcnt(0)
	v_add_f32_e32 v9, v9, v10
	ds_bpermute_b32 v10, v3, v9
	s_waitcnt lgkmcnt(0)
	v_add_f32_e32 v9, v9, v10
	;; [unrolled: 3-line block ×5, first 2 shown]
.LBB30_57:
	s_or_b64 exec, exec, s[6:7]
	s_lshr_b32 s20, s14, 2
	s_cmp_lg_u32 s15, 0
	s_mov_b32 s17, 0
	v_cmp_eq_u32_e64 s[6:7], 0, v0
	s_cselect_b64 s[8:9], -1, 0
	s_and_saveexec_b64 s[10:11], s[6:7]
	s_cbranch_execz .LBB30_61
; %bb.58:
	s_add_i32 s16, s20, s19
	s_lshl_b64 s[14:15], s[16:17], 2
	s_add_u32 s14, s12, s14
	s_addc_u32 s15, s13, s15
	s_andn2_b64 vcc, exec, s[8:9]
	s_cbranch_vccnz .LBB30_60
; %bb.59:
	s_load_dword s16, s[14:15], 0x0
	s_waitcnt lgkmcnt(0)
	v_add_f32_e32 v9, s16, v9
.LBB30_60:
	v_mov_b32_e32 v0, 0
	s_waitcnt lgkmcnt(0)
	global_store_dword v0, v9, s[14:15]
.LBB30_61:
	s_or_b64 exec, exec, s[10:11]
	ds_bpermute_b32 v0, v2, v1
	s_waitcnt lgkmcnt(0)
	s_barrier
	v_add_f32_e32 v0, v1, v0
	ds_bpermute_b32 v1, v3, v0
	s_waitcnt lgkmcnt(0)
	v_add_f32_e32 v0, v0, v1
	ds_bpermute_b32 v1, v4, v0
	s_waitcnt lgkmcnt(0)
	;; [unrolled: 3-line block ×3, first 2 shown]
	v_add_f32_e32 v0, v0, v1
	ds_bpermute_b32 v1, v6, v0
	s_and_saveexec_b64 s[10:11], s[2:3]
	s_cbranch_execz .LBB30_63
; %bb.62:
	s_waitcnt lgkmcnt(0)
	v_add_f32_e32 v0, v0, v1
	ds_write_b32 v7, v0
.LBB30_63:
	s_or_b64 exec, exec, s[10:11]
	v_mov_b32_e32 v0, 0
	s_waitcnt lgkmcnt(0)
	s_barrier
	s_and_saveexec_b64 s[2:3], s[0:1]
	s_cbranch_execnz .LBB30_66
; %bb.64:
	s_or_b64 exec, exec, s[2:3]
	s_and_saveexec_b64 s[0:1], s[4:5]
	s_cbranch_execnz .LBB30_67
.LBB30_65:
	s_or_b64 exec, exec, s[0:1]
	s_and_saveexec_b64 s[0:1], s[6:7]
	s_cbranch_execnz .LBB30_68
	s_branch .LBB30_72
.LBB30_66:
	ds_read_b32 v0, v8
	s_or_b64 exec, exec, s[2:3]
	s_and_saveexec_b64 s[0:1], s[4:5]
	s_cbranch_execz .LBB30_65
.LBB30_67:
	s_waitcnt lgkmcnt(0)
	ds_bpermute_b32 v1, v2, v0
	s_waitcnt lgkmcnt(0)
	v_add_f32_e32 v0, v0, v1
	ds_bpermute_b32 v1, v3, v0
	s_waitcnt lgkmcnt(0)
	v_add_f32_e32 v0, v0, v1
	;; [unrolled: 3-line block ×5, first 2 shown]
	s_or_b64 exec, exec, s[0:1]
	s_and_saveexec_b64 s[0:1], s[6:7]
	s_cbranch_execz .LBB30_72
.LBB30_68:
	s_or_b32 s2, s19, 1
	s_cmp_ge_u32 s2, s18
	s_cbranch_scc1 .LBB30_72
; %bb.69:
	s_add_i32 s2, s20, s2
	s_mov_b32 s3, 0
	s_lshl_b64 s[2:3], s[2:3], 2
	s_add_u32 s2, s12, s2
	s_addc_u32 s3, s13, s3
	s_andn2_b64 vcc, exec, s[8:9]
	s_cbranch_vccnz .LBB30_71
; %bb.70:
	v_mov_b32_e32 v1, 0
	global_load_dword v1, v1, s[2:3]
	s_waitcnt vmcnt(0) lgkmcnt(0)
	v_add_f32_e32 v0, v0, v1
.LBB30_71:
	v_mov_b32_e32 v1, 0
	s_waitcnt lgkmcnt(0)
	global_store_dword v1, v0, s[2:3]
.LBB30_72:
	s_or_b64 exec, exec, s[0:1]
	s_waitcnt lgkmcnt(0)
	s_barrier
.LBB30_73:
	s_endpgm
	.section	.rodata,"a",@progbits
	.p2align	6, 0x0
	.amdhsa_kernel dmmv_q4k_mr2
		.amdhsa_group_segment_fixed_size 128
		.amdhsa_private_segment_fixed_size 0
		.amdhsa_kernarg_size 304
		.amdhsa_user_sgpr_count 6
		.amdhsa_user_sgpr_private_segment_buffer 1
		.amdhsa_user_sgpr_dispatch_ptr 0
		.amdhsa_user_sgpr_queue_ptr 0
		.amdhsa_user_sgpr_kernarg_segment_ptr 1
		.amdhsa_user_sgpr_dispatch_id 0
		.amdhsa_user_sgpr_flat_scratch_init 0
		.amdhsa_user_sgpr_kernarg_preload_length 0
		.amdhsa_user_sgpr_kernarg_preload_offset 0
		.amdhsa_user_sgpr_private_segment_size 0
		.amdhsa_uses_dynamic_stack 0
		.amdhsa_system_sgpr_private_segment_wavefront_offset 0
		.amdhsa_system_sgpr_workgroup_id_x 1
		.amdhsa_system_sgpr_workgroup_id_y 0
		.amdhsa_system_sgpr_workgroup_id_z 0
		.amdhsa_system_sgpr_workgroup_info 0
		.amdhsa_system_vgpr_workitem_id 0
		.amdhsa_next_free_vgpr 62
		.amdhsa_next_free_sgpr 31
		.amdhsa_accum_offset 64
		.amdhsa_reserve_vcc 1
		.amdhsa_reserve_flat_scratch 0
		.amdhsa_float_round_mode_32 0
		.amdhsa_float_round_mode_16_64 0
		.amdhsa_float_denorm_mode_32 3
		.amdhsa_float_denorm_mode_16_64 3
		.amdhsa_dx10_clamp 1
		.amdhsa_ieee_mode 1
		.amdhsa_fp16_overflow 0
		.amdhsa_tg_split 0
		.amdhsa_exception_fp_ieee_invalid_op 0
		.amdhsa_exception_fp_denorm_src 0
		.amdhsa_exception_fp_ieee_div_zero 0
		.amdhsa_exception_fp_ieee_overflow 0
		.amdhsa_exception_fp_ieee_underflow 0
		.amdhsa_exception_fp_ieee_inexact 0
		.amdhsa_exception_int_div_zero 0
	.end_amdhsa_kernel
	.text
.Lfunc_end30:
	.size	dmmv_q4k_mr2, .Lfunc_end30-dmmv_q4k_mr2
                                        ; -- End function
	.section	.AMDGPU.csdata,"",@progbits
; Kernel info:
; codeLenInByte = 3552
; NumSgprs: 35
; NumVgprs: 62
; NumAgprs: 0
; TotalNumVgprs: 62
; ScratchSize: 0
; MemoryBound: 0
; FloatMode: 240
; IeeeMode: 1
; LDSByteSize: 128 bytes/workgroup (compile time only)
; SGPRBlocks: 4
; VGPRBlocks: 7
; NumSGPRsForWavesPerEU: 35
; NumVGPRsForWavesPerEU: 62
; AccumOffset: 64
; Occupancy: 8
; WaveLimiterHint : 1
; COMPUTE_PGM_RSRC2:SCRATCH_EN: 0
; COMPUTE_PGM_RSRC2:USER_SGPR: 6
; COMPUTE_PGM_RSRC2:TRAP_HANDLER: 0
; COMPUTE_PGM_RSRC2:TGID_X_EN: 1
; COMPUTE_PGM_RSRC2:TGID_Y_EN: 0
; COMPUTE_PGM_RSRC2:TGID_Z_EN: 0
; COMPUTE_PGM_RSRC2:TIDIG_COMP_CNT: 0
; COMPUTE_PGM_RSRC3_GFX90A:ACCUM_OFFSET: 15
; COMPUTE_PGM_RSRC3_GFX90A:TG_SPLIT: 0
	.text
	.protected	dmmv_q4k_mr4            ; -- Begin function dmmv_q4k_mr4
	.globl	dmmv_q4k_mr4
	.p2align	8
	.type	dmmv_q4k_mr4,@function
dmmv_q4k_mr4:                           ; @dmmv_q4k_mr4
; %bb.0:
	s_load_dword s22, s[4:5], 0x18
	s_add_u32 s8, s4, 24
	s_addc_u32 s9, s5, 0
	s_lshl_b32 s23, s6, 2
	s_waitcnt lgkmcnt(0)
	s_cmp_ge_u32 s23, s22
	s_cbranch_scc1 .LBB31_143
; %bb.1:
	s_load_dword s7, s[4:5], 0x3c
	s_load_dwordx4 s[12:15], s[4:5], 0x1c
	s_load_dwordx2 s[16:17], s[4:5], 0x10
	s_load_dwordx4 s[0:3], s[4:5], 0x0
	s_load_dwordx2 s[18:19], s[8:9], 0x10
	s_mov_b32 s8, 0
	s_mov_b32 s9, s8
	s_waitcnt lgkmcnt(0)
	s_lshr_b32 s25, s12, 8
	v_lshrrev_b32_e32 v1, 4, v0
	s_mov_b32 s10, s8
	s_mov_b32 s11, s8
	v_pk_mov_b32 v[2:3], s[8:9], s[8:9] op_sel:[0,1]
	s_and_b32 s24, s7, 0xffff
	v_cmp_gt_u32_e32 vcc, s25, v1
	v_pk_mov_b32 v[4:5], s[10:11], s[10:11] op_sel:[0,1]
	s_and_saveexec_b64 s[4:5], vcc
	s_cbranch_execz .LBB31_99
; %bb.2:
	s_lshr_b32 s26, s24, 4
	s_and_b32 s7, s14, -4
	s_add_u32 s27, s2, s7
	s_addc_u32 s20, s3, 0
	s_lshr_b32 s7, s13, 2
	s_or_b32 s2, s23, 1
	s_cmp_lt_u32 s2, s22
	s_cselect_b64 s[2:3], -1, 0
	s_or_b32 s12, s23, 2
	s_cmp_lt_u32 s12, s22
	v_bfe_u32 v2, v0, 3, 1
	v_lshlrev_b32_e32 v3, 3, v0
	s_cselect_b64 s[12:13], -1, 0
	s_or_b32 s14, s23, 3
	v_and_b32_e32 v3, 24, v3
	v_lshlrev_b32_e32 v4, 6, v2
	v_and_b32_e32 v5, 4, v0
	v_lshlrev_b32_e32 v22, 4, v2
	v_lshlrev_b32_e32 v2, 5, v2
	s_cmp_lt_u32 s14, s22
	s_cselect_b64 s[14:15], -1, 0
	v_or3_b32 v2, v2, v3, v5
	s_add_i32 s21, s23, 1
	v_lshrrev_b32_e32 v2, 2, v2
	s_mul_i32 s21, s25, s21
	v_add_u32_e32 v2, s7, v2
	s_mul_i32 s21, s21, 36
	v_add_u32_e32 v29, s21, v2
	s_add_i32 s29, s7, s21
	s_add_i32 s21, s23, 2
	s_mul_i32 s21, s25, s21
	s_mul_i32 s21, s21, 36
	v_add_u32_e32 v31, s21, v2
	s_add_i32 s30, s7, s21
	s_add_i32 s21, s23, 3
	s_mul_i32 s21, s25, s21
	s_mul_i32 s6, s6, s25
	;; [unrolled: 1-line block ×3, first 2 shown]
	s_mulk_i32 s6, 0x90
	v_add_u32_e32 v32, s21, v2
	v_add_u32_e32 v33, s6, v2
	v_lshl_or_b32 v2, v1, 8, v4
	v_or3_b32 v34, v2, v3, v5
	v_pk_mov_b32 v[2:3], s[8:9], s[8:9] op_sel:[0,1]
	v_mul_u32_u24_e32 v23, 36, v1
	s_mul_i32 s28, s26, 36
	s_add_i32 s31, s7, s21
	s_add_i32 s33, s7, s6
	s_lshl_b32 s34, s26, 8
	s_mov_b64 s[6:7], 0
	v_pk_mov_b32 v[4:5], s[10:11], s[10:11] op_sel:[0,1]
	v_mov_b32_e32 v35, s20
	v_mov_b32_e32 v36, s1
	s_mov_b32 s35, 0x7f800000
	s_movk_i32 s36, 0x3ff
	s_mov_b32 s37, 0x7fc000
	v_mov_b32_e32 v25, 0
	v_mov_b32_e32 v37, 13
	;; [unrolled: 1-line block ×3, first 2 shown]
	s_branch .LBB31_7
.LBB31_3:                               ;   in Loop: Header=BB31_7 Depth=1
	s_andn2_saveexec_b64 s[20:21], s[20:21]
	s_or_b64 exec, exec, s[20:21]
.LBB31_4:                               ;   in Loop: Header=BB31_7 Depth=1
	s_or_b64 exec, exec, s[10:11]
.LBB31_5:                               ;   in Loop: Header=BB31_7 Depth=1
	s_or_b64 exec, exec, s[8:9]
	v_add_u32_e32 v40, 1, v24
	v_mov_b32_e32 v41, v25
	v_lshlrev_b64 v[40:41], 2, v[40:41]
	v_mov_b32_e32 v17, s1
	v_add_co_u32_e32 v40, vcc, s0, v40
	v_add_u32_e32 v42, 2, v24
	v_mov_b32_e32 v43, v25
	v_addc_co_u32_e32 v41, vcc, v17, v41, vcc
	v_lshlrev_b64 v[42:43], 2, v[42:43]
	v_add_co_u32_e32 v42, vcc, s0, v42
	v_add_u32_e32 v24, 3, v24
	v_addc_co_u32_e32 v43, vcc, v17, v43, vcc
	global_load_dword v30, v[40:41], off
	global_load_dword v39, v[42:43], off
	v_lshlrev_b64 v[40:41], 2, v[24:25]
	v_add_u32_e32 v44, v23, v32
	v_add_co_u32_e32 v40, vcc, s0, v40
	v_add_u32_e32 v24, 4, v44
	v_addc_co_u32_e32 v41, vcc, v17, v41, vcc
	v_lshlrev_b64 v[42:43], 2, v[24:25]
	v_add_co_u32_e32 v42, vcc, s0, v42
	v_addc_co_u32_e32 v43, vcc, v17, v43, vcc
	global_load_dword v45, v[40:41], off
	global_load_dword v46, v[42:43], off
	v_add_u32_e32 v24, 20, v44
	v_lshlrev_b64 v[40:41], 2, v[24:25]
	v_add_co_u32_e32 v40, vcc, s0, v40
	v_addc_co_u32_e32 v41, vcc, v17, v41, vcc
	global_load_dword v24, v[40:41], off
	s_waitcnt vmcnt(4)
	v_lshrrev_b32_e32 v17, v22, v30
	s_waitcnt vmcnt(3)
	v_lshrrev_b32_e32 v40, v22, v39
	v_bfe_u32 v30, v30, v22, 6
	v_bfe_u32 v39, v39, v22, 6
	;; [unrolled: 1-line block ×3, first 2 shown]
	v_cvt_f32_ubyte0_e32 v41, v30
	v_bfe_u32 v30, v40, 8, 6
	v_lshrrev_b32_e32 v54, 10, v17
	v_lshrrev_b32_e32 v17, 2, v17
	v_cvt_f32_ubyte0_e32 v43, v39
	v_lshrrev_b32_e32 v56, 2, v40
	v_lshrrev_b32_e32 v58, 10, v40
	v_cvt_f32_ubyte0_e32 v40, v42
	v_cvt_f32_ubyte0_e32 v42, v30
	s_waitcnt vmcnt(1)
	v_bfe_u32 v48, v46, 12, 4
	v_bfe_u32 v47, v46, 8, 4
	v_and_b32_e32 v17, 48, v17
	v_bfe_u32 v50, v46, 24, 4
	v_lshrrev_b32_e32 v53, 28, v46
	v_bfe_u32 v39, v46, 4, 4
	v_and_b32_e32 v44, 15, v46
	v_bfe_u32 v51, v46, 20, 4
	v_bfe_u32 v49, v46, 16, 4
	v_cvt_f32_ubyte0_e32 v47, v47
	v_cvt_f32_ubyte0_e32 v46, v48
	v_pk_mul_f32 v[40:41], v[16:17], v[40:41] op_sel_hi:[0,1]
	v_pk_mul_f32 v[42:43], v[28:29], v[42:43] op_sel_hi:[0,1]
	v_lshrrev_b32_e32 v52, v22, v45
	v_cvt_f32_ubyte0_e32 v45, v44
	v_cvt_f32_ubyte0_e32 v44, v39
	v_pk_fma_f32 v[46:47], v[40:41], v[46:47], v[42:43] neg_lo:[0,0,1] neg_hi:[0,0,1]
	v_cvt_f32_ubyte0_e32 v49, v49
	v_cvt_f32_ubyte0_e32 v48, v51
	v_pk_fma_f32 v[44:45], v[40:41], v[44:45], v[42:43] neg_lo:[0,0,1] neg_hi:[0,0,1]
	v_pk_mul_f32 v[10:11], v[10:11], v[46:47]
	v_cvt_f32_ubyte0_e32 v51, v50
	v_cvt_f32_ubyte0_e32 v50, v53
	v_pk_fma_f32 v[48:49], v[40:41], v[48:49], v[42:43] neg_lo:[0,0,1] neg_hi:[0,0,1]
	v_pk_fma_f32 v[10:11], v[26:27], v[44:45], v[10:11]
	v_pk_fma_f32 v[40:41], v[40:41], v[50:51], v[42:43] neg_lo:[0,0,1] neg_hi:[0,0,1]
	v_pk_fma_f32 v[10:11], v[18:19], v[48:49], v[10:11]
	v_bfe_u32 v55, v52, 8, 4
	v_pk_fma_f32 v[10:11], v[12:13], v[40:41], v[10:11]
	v_bfe_u32 v57, v52, 12, 4
	v_lshrrev_b32_e32 v59, 4, v52
	v_and_or_b32 v53, v54, 48, v55
	v_and_b32_e32 v54, 48, v56
	v_add_f32_e32 v11, 0, v11
	v_and_or_b32 v17, v52, 15, v17
	v_add_f32_e32 v26, v10, v11
	v_and_or_b32 v10, v59, 15, v54
	v_and_or_b32 v11, v58, 48, v57
	v_cvt_f32_ubyte0_e32 v53, v53
	v_cvt_f32_ubyte0_e32 v52, v17
	v_cvt_f32_ubyte0_e32 v11, v11
	v_cvt_f32_ubyte0_e32 v10, v10
	s_waitcnt vmcnt(0)
	v_bfe_u32 v18, v24, 8, 4
	v_bfe_u32 v19, v24, 12, 4
	v_pk_mul_f32 v[16:17], v[16:17], v[52:53] op_sel_hi:[0,1]
	v_pk_mul_f32 v[10:11], v[28:29], v[10:11] op_sel_hi:[0,1]
	v_and_b32_e32 v12, 15, v24
	v_bfe_u32 v13, v24, 4, 4
	v_cvt_f32_ubyte0_e32 v19, v19
	v_cvt_f32_ubyte0_e32 v18, v18
	;; [unrolled: 1-line block ×4, first 2 shown]
	v_pk_fma_f32 v[18:19], v[16:17], v[18:19], v[10:11] neg_lo:[0,0,1] neg_hi:[0,0,1]
	v_pk_fma_f32 v[12:13], v[16:17], v[12:13], v[10:11] neg_lo:[0,0,1] neg_hi:[0,0,1]
	v_pk_mul_f32 v[6:7], v[6:7], v[18:19]
	v_pk_fma_f32 v[6:7], v[20:21], v[12:13], v[6:7]
	v_bfe_u32 v12, v24, 16, 4
	v_bfe_u32 v13, v24, 20, 4
	v_cvt_f32_ubyte0_e32 v13, v13
	v_cvt_f32_ubyte0_e32 v12, v12
	v_bfe_u32 v30, v24, 24, 4
	v_lshrrev_b32_e32 v39, 28, v24
	v_pk_fma_f32 v[12:13], v[16:17], v[12:13], v[10:11] neg_lo:[0,0,1] neg_hi:[0,0,1]
	v_pk_fma_f32 v[6:7], v[14:15], v[12:13], v[6:7]
	v_cvt_f32_ubyte0_e32 v13, v39
	v_cvt_f32_ubyte0_e32 v12, v30
	v_pk_fma_f32 v[10:11], v[16:17], v[12:13], v[10:11] neg_lo:[0,0,1] neg_hi:[0,0,1]
	v_pk_fma_f32 v[6:7], v[8:9], v[10:11], v[6:7]
	v_add_f32_e32 v6, v6, v26
	v_add_f32_e32 v6, v7, v6
	;; [unrolled: 1-line block ×3, first 2 shown]
.LBB31_6:                               ;   in Loop: Header=BB31_7 Depth=1
	v_add_u32_e32 v1, s26, v1
	s_add_i32 s29, s29, s28
	s_add_i32 s30, s30, s28
	;; [unrolled: 1-line block ×4, first 2 shown]
	v_cmp_le_u32_e32 vcc, s25, v1
	v_add_u32_e32 v29, s28, v29
	v_add_u32_e32 v31, s28, v31
	;; [unrolled: 1-line block ×4, first 2 shown]
	s_or_b64 s[6:7], vcc, s[6:7]
	v_add_u32_e32 v34, s34, v34
	s_andn2_b64 exec, exec, s[6:7]
	s_cbranch_execz .LBB31_98
.LBB31_7:                               ; =>This Inner Loop Header: Depth=1
	v_lshrrev_b32_e32 v24, 2, v34
	v_lshlrev_b64 v[6:7], 4, v[24:25]
	v_add_co_u32_e32 v40, vcc, s27, v6
	v_add_u32_e32 v26, s33, v23
	v_mov_b32_e32 v27, v25
	v_addc_co_u32_e32 v41, vcc, v35, v7, vcc
	v_lshlrev_b64 v[6:7], 2, v[26:27]
	v_add_co_u32_e32 v42, vcc, s0, v6
	v_addc_co_u32_e32 v43, vcc, v36, v7, vcc
	global_load_dword v24, v[42:43], off
	global_load_dwordx4 v[10:13], v[40:41], off
	global_load_dwordx4 v[18:21], v[40:41], off offset:128
	global_load_dwordx4 v[14:17], v[40:41], off offset:512
	;; [unrolled: 1-line block ×3, first 2 shown]
                                        ; implicit-def: $vgpr28
	s_waitcnt vmcnt(4)
	v_bfe_u32 v30, v24, 10, 5
	v_bfe_u32 v27, v24, 15, 1
	v_cmp_lt_i32_e32 vcc, 30, v30
	s_and_saveexec_b64 s[8:9], vcc
	s_xor_b64 s[8:9], exec, s[8:9]
; %bb.8:                                ;   in Loop: Header=BB31_7 Depth=1
	v_lshlrev_b32_e32 v27, 31, v27
	v_lshlrev_b32_sdwa v28, v37, v24 dst_sel:DWORD dst_unused:UNUSED_PAD src0_sel:DWORD src1_sel:WORD_0
	v_or3_b32 v28, v27, v28, s35
                                        ; implicit-def: $vgpr30
                                        ; implicit-def: $vgpr27
; %bb.9:                                ;   in Loop: Header=BB31_7 Depth=1
	s_andn2_saveexec_b64 s[8:9], s[8:9]
	s_cbranch_execz .LBB31_19
; %bb.10:                               ;   in Loop: Header=BB31_7 Depth=1
	v_and_b32_e32 v39, 0x3ff, v24
	v_cmp_ne_u32_e32 vcc, 0, v30
                                        ; implicit-def: $vgpr28
	s_and_saveexec_b64 s[10:11], vcc
	s_xor_b64 s[10:11], exec, s[10:11]
; %bb.11:                               ;   in Loop: Header=BB31_7 Depth=1
	v_lshlrev_b32_e32 v27, 31, v27
	v_lshlrev_b32_e32 v28, 23, v30
	;; [unrolled: 1-line block ×3, first 2 shown]
	v_or3_b32 v27, v28, v27, v30
	v_add_u32_e32 v28, 0x38000000, v27
                                        ; implicit-def: $vgpr27
                                        ; implicit-def: $vgpr39
; %bb.12:                               ;   in Loop: Header=BB31_7 Depth=1
	s_andn2_saveexec_b64 s[10:11], s[10:11]
	s_cbranch_execz .LBB31_18
; %bb.13:                               ;   in Loop: Header=BB31_7 Depth=1
	v_cmp_ne_u32_e32 vcc, 0, v39
                                        ; implicit-def: $vgpr28
	s_and_saveexec_b64 s[20:21], vcc
	s_xor_b64 s[20:21], exec, s[20:21]
; %bb.14:                               ;   in Loop: Header=BB31_7 Depth=1
	v_ffbh_u32_e32 v28, v39
	v_xor_b32_e32 v30, 31, v28
	v_sub_u32_e32 v30, 9, v30
	v_lshlrev_b32_e32 v30, v30, v24
	v_lshl_or_b32 v27, v27, 31, v38
	v_lshlrev_b32_e32 v28, 23, v28
	v_lshlrev_b32_e32 v30, 14, v30
	v_sub_u32_e32 v27, v27, v28
	v_and_or_b32 v28, v30, s37, v27
                                        ; implicit-def: $vgpr27
; %bb.15:                               ;   in Loop: Header=BB31_7 Depth=1
	s_andn2_saveexec_b64 s[20:21], s[20:21]
; %bb.16:                               ;   in Loop: Header=BB31_7 Depth=1
	v_lshlrev_b32_e32 v28, 31, v27
; %bb.17:                               ;   in Loop: Header=BB31_7 Depth=1
	s_or_b64 exec, exec, s[20:21]
.LBB31_18:                              ;   in Loop: Header=BB31_7 Depth=1
	s_or_b64 exec, exec, s[10:11]
.LBB31_19:                              ;   in Loop: Header=BB31_7 Depth=1
	s_or_b64 exec, exec, s[8:9]
	v_bfe_u32 v27, v24, 26, 5
	v_cmp_lt_i32_e32 vcc, 30, v27
	v_and_b32_e32 v30, 0x80000000, v24
	s_and_saveexec_b64 s[8:9], vcc
	s_xor_b64 s[8:9], exec, s[8:9]
; %bb.20:                               ;   in Loop: Header=BB31_7 Depth=1
	v_and_b32_e32 v27, 0x80000000, v24
	v_lshlrev_b32_sdwa v24, v37, v24 dst_sel:DWORD dst_unused:UNUSED_PAD src0_sel:DWORD src1_sel:WORD_1
	v_or3_b32 v30, v24, v27, s35
                                        ; implicit-def: $vgpr24
                                        ; implicit-def: $vgpr27
; %bb.21:                               ;   in Loop: Header=BB31_7 Depth=1
	s_andn2_saveexec_b64 s[8:9], s[8:9]
	s_cbranch_execz .LBB31_29
; %bb.22:                               ;   in Loop: Header=BB31_7 Depth=1
	v_and_b32_sdwa v39, v24, s36 dst_sel:DWORD dst_unused:UNUSED_PAD src0_sel:WORD_1 src1_sel:DWORD
	v_cmp_ne_u32_e32 vcc, 0, v27
	s_and_saveexec_b64 s[10:11], vcc
	s_xor_b64 s[10:11], exec, s[10:11]
; %bb.23:                               ;   in Loop: Header=BB31_7 Depth=1
	v_and_b32_e32 v24, 0x80000000, v24
	v_lshlrev_b32_e32 v27, 23, v27
	v_lshlrev_b32_e32 v30, 13, v39
	v_or3_b32 v24, v27, v24, v30
	v_add_u32_e32 v30, 0x38000000, v24
                                        ; implicit-def: $vgpr39
                                        ; implicit-def: $vgpr24
; %bb.24:                               ;   in Loop: Header=BB31_7 Depth=1
	s_andn2_saveexec_b64 s[10:11], s[10:11]
	s_cbranch_execz .LBB31_28
; %bb.25:                               ;   in Loop: Header=BB31_7 Depth=1
	v_cmp_ne_u32_e32 vcc, 0, v39
	s_and_saveexec_b64 s[20:21], vcc
	s_xor_b64 s[20:21], exec, s[20:21]
; %bb.26:                               ;   in Loop: Header=BB31_7 Depth=1
	v_ffbh_u32_e32 v27, v39
	v_xor_b32_e32 v30, 31, v27
	v_sub_u32_e32 v30, 9, v30
	v_lshlrev_b32_sdwa v30, v30, v24 dst_sel:DWORD dst_unused:UNUSED_PAD src0_sel:DWORD src1_sel:WORD_1
	v_and_b32_e32 v24, 0x80000000, v24
	v_or_b32_e32 v24, 0x43000000, v24
	v_lshlrev_b32_e32 v27, 23, v27
	v_lshlrev_b32_e32 v30, 14, v30
	v_sub_u32_e32 v24, v24, v27
	v_and_or_b32 v30, v30, s37, v24
; %bb.27:                               ;   in Loop: Header=BB31_7 Depth=1
	s_andn2_saveexec_b64 s[20:21], s[20:21]
	s_or_b64 exec, exec, s[20:21]
.LBB31_28:                              ;   in Loop: Header=BB31_7 Depth=1
	s_or_b64 exec, exec, s[10:11]
.LBB31_29:                              ;   in Loop: Header=BB31_7 Depth=1
	s_or_b64 exec, exec, s[8:9]
	v_add_u32_e32 v24, 1, v26
	v_lshlrev_b64 v[40:41], 2, v[24:25]
	v_mov_b32_e32 v39, s1
	v_add_co_u32_e32 v40, vcc, s0, v40
	v_add_u32_e32 v24, 2, v26
	v_addc_co_u32_e32 v41, vcc, v39, v41, vcc
	v_lshlrev_b64 v[42:43], 2, v[24:25]
	v_add_co_u32_e32 v42, vcc, s0, v42
	v_add_u32_e32 v24, 3, v26
	v_addc_co_u32_e32 v43, vcc, v39, v43, vcc
	v_lshlrev_b64 v[26:27], 2, v[24:25]
	global_load_dword v44, v[40:41], off
	global_load_dword v45, v[42:43], off
	v_add_co_u32_e32 v26, vcc, s0, v26
	v_add_u32_e32 v41, v23, v33
	v_addc_co_u32_e32 v27, vcc, v39, v27, vcc
	v_add_u32_e32 v24, 4, v41
	global_load_dword v40, v[26:27], off
	v_lshlrev_b64 v[26:27], 2, v[24:25]
	v_add_co_u32_e32 v26, vcc, s0, v26
	v_addc_co_u32_e32 v27, vcc, v39, v27, vcc
	global_load_dword v42, v[26:27], off
	v_add_u32_e32 v24, 20, v41
	v_lshlrev_b64 v[26:27], 2, v[24:25]
	v_add_co_u32_e32 v26, vcc, s0, v26
	v_addc_co_u32_e32 v27, vcc, v39, v27, vcc
	global_load_dword v24, v[26:27], off
	s_waitcnt vmcnt(7)
	v_mov_b32_e32 v26, v18
	v_mov_b32_e32 v18, v20
	v_mov_b32_e32 v27, v10
	v_mov_b32_e32 v10, v19
	v_mov_b32_e32 v19, v12
	v_mov_b32_e32 v12, v21
	s_andn2_b64 vcc, exec, s[2:3]
	s_waitcnt vmcnt(4)
	v_lshrrev_b32_e32 v20, v22, v44
	s_waitcnt vmcnt(3)
	v_lshrrev_b32_e32 v39, v22, v45
	v_bfe_u32 v21, v44, v22, 6
	v_bfe_u32 v41, v20, 8, 6
	;; [unrolled: 1-line block ×3, first 2 shown]
	v_lshrrev_b32_e32 v44, 2, v20
	v_bfe_u32 v45, v39, 8, 6
	v_cvt_f32_ubyte0_e32 v21, v21
	v_lshrrev_b32_e32 v50, 10, v20
	v_cvt_f32_ubyte0_e32 v20, v41
	v_cvt_f32_ubyte0_e32 v41, v43
	s_waitcnt vmcnt(2)
	v_lshrrev_b32_e32 v52, v22, v40
	v_and_b32_e32 v43, 48, v44
	v_cvt_f32_ubyte0_e32 v40, v45
	s_waitcnt vmcnt(1)
	v_bfe_u32 v44, v42, 4, 4
	v_and_b32_e32 v45, 15, v42
	v_bfe_u32 v46, v42, 12, 4
	v_bfe_u32 v47, v42, 8, 4
	;; [unrolled: 1-line block ×3, first 2 shown]
	v_lshrrev_b32_e32 v51, 28, v42
	v_pk_mul_f32 v[20:21], v[28:29], v[20:21] op_sel_hi:[0,1]
	v_bfe_u32 v49, v42, 20, 4
	v_bfe_u32 v54, v42, 16, 4
	v_and_or_b32 v56, v52, 15, v43
	v_pk_mul_f32 v[40:41], v[30:31], v[40:41] op_sel_hi:[0,1]
	v_cvt_f32_ubyte0_e32 v43, v45
	v_cvt_f32_ubyte0_e32 v42, v44
	;; [unrolled: 1-line block ×8, first 2 shown]
	v_pk_fma_f32 v[44:45], v[20:21], v[44:45], v[40:41] neg_lo:[0,0,1] neg_hi:[0,0,1]
	v_pk_fma_f32 v[42:43], v[20:21], v[42:43], v[40:41] neg_lo:[0,0,1] neg_hi:[0,0,1]
	;; [unrolled: 1-line block ×4, first 2 shown]
	v_pk_mul_f32 v[40:41], v[10:11], v[44:45]
	v_pk_fma_f32 v[40:41], v[26:27], v[42:43], v[40:41]
	v_bfe_u32 v55, v52, 8, 4
	v_pk_fma_f32 v[40:41], v[18:19], v[46:47], v[40:41]
	v_and_or_b32 v51, v50, 48, v55
	v_pk_fma_f32 v[20:21], v[12:13], v[20:21], v[40:41]
	v_lshrrev_b32_e32 v53, 2, v39
	v_cvt_f32_ubyte0_e32 v50, v56
	v_cvt_f32_ubyte0_e32 v51, v51
	v_add_f32_e32 v21, 0, v21
	v_bfe_u32 v57, v52, 12, 4
	v_pk_mul_f32 v[44:45], v[28:29], v[50:51] op_sel_hi:[0,1]
	v_add_f32_e32 v28, v20, v21
	v_and_b32_e32 v20, 48, v53
	v_lshrrev_b32_e32 v21, 10, v39
	v_lshrrev_b32_e32 v39, 4, v52
	v_and_or_b32 v20, v39, 15, v20
	v_and_or_b32 v21, v21, 48, v57
	v_cvt_f32_ubyte0_e32 v21, v21
	v_cvt_f32_ubyte0_e32 v20, v20
	v_pk_mul_f32 v[40:41], v[30:31], v[20:21] op_sel_hi:[0,1]
	s_waitcnt vmcnt(0)
	v_and_b32_e32 v20, 15, v24
	v_bfe_u32 v21, v24, 4, 4
	v_cvt_f32_ubyte0_e32 v21, v21
	v_cvt_f32_ubyte0_e32 v20, v20
	v_pk_fma_f32 v[42:43], v[44:45], v[20:21], v[40:41] neg_lo:[0,0,1] neg_hi:[0,0,1]
	v_mov_b32_e32 v20, v14
	v_mov_b32_e32 v21, v6
	v_bfe_u32 v6, v24, 8, 4
	v_bfe_u32 v14, v24, 12, 4
	v_cvt_f32_ubyte0_e32 v47, v14
	v_cvt_f32_ubyte0_e32 v46, v6
	v_pk_fma_f32 v[46:47], v[44:45], v[46:47], v[40:41] neg_lo:[0,0,1] neg_hi:[0,0,1]
	v_mov_b32_e32 v6, v15
	v_pk_mul_f32 v[14:15], v[6:7], v[46:47]
	v_pk_fma_f32 v[42:43], v[20:21], v[42:43], v[14:15]
	v_bfe_u32 v14, v24, 16, 4
	v_bfe_u32 v15, v24, 20, 4
	v_cvt_f32_ubyte0_e32 v15, v15
	v_cvt_f32_ubyte0_e32 v14, v14
	v_bfe_u32 v54, v24, 24, 4
	v_lshrrev_b32_e32 v58, 28, v24
	v_pk_fma_f32 v[46:47], v[44:45], v[14:15], v[40:41] neg_lo:[0,0,1] neg_hi:[0,0,1]
	v_mov_b32_e32 v14, v16
	v_mov_b32_e32 v15, v8
	v_pk_fma_f32 v[42:43], v[14:15], v[46:47], v[42:43]
	v_cvt_f32_ubyte0_e32 v47, v58
	v_cvt_f32_ubyte0_e32 v46, v54
	v_pk_fma_f32 v[40:41], v[44:45], v[46:47], v[40:41] neg_lo:[0,0,1] neg_hi:[0,0,1]
	v_mov_b32_e32 v8, v17
	v_pk_fma_f32 v[16:17], v[8:9], v[40:41], v[42:43]
	v_add_f32_e32 v16, v16, v28
	v_add_f32_e32 v16, v17, v16
	;; [unrolled: 1-line block ×3, first 2 shown]
	s_cbranch_vccz .LBB31_32
; %bb.30:                               ;   in Loop: Header=BB31_7 Depth=1
	s_andn2_b64 vcc, exec, s[12:13]
	s_cbranch_vccz .LBB31_55
.LBB31_31:                              ;   in Loop: Header=BB31_7 Depth=1
	s_andn2_b64 vcc, exec, s[14:15]
	s_cbranch_vccnz .LBB31_6
	s_branch .LBB31_78
.LBB31_32:                              ;   in Loop: Header=BB31_7 Depth=1
	v_add_u32_e32 v24, s29, v23
	v_lshlrev_b64 v[16:17], 2, v[24:25]
	v_mov_b32_e32 v28, s1
	v_add_co_u32_e32 v16, vcc, s0, v16
	v_addc_co_u32_e32 v17, vcc, v28, v17, vcc
	global_load_dword v17, v[16:17], off
                                        ; implicit-def: $vgpr16
	s_waitcnt vmcnt(0)
	v_bfe_u32 v30, v17, 10, 5
	v_bfe_u32 v28, v17, 15, 1
	v_cmp_lt_i32_e32 vcc, 30, v30
	s_and_saveexec_b64 s[8:9], vcc
	s_xor_b64 s[8:9], exec, s[8:9]
; %bb.33:                               ;   in Loop: Header=BB31_7 Depth=1
	v_lshlrev_b32_e32 v16, 31, v28
	v_lshlrev_b32_sdwa v28, v37, v17 dst_sel:DWORD dst_unused:UNUSED_PAD src0_sel:DWORD src1_sel:WORD_0
	v_or3_b32 v16, v16, v28, s35
                                        ; implicit-def: $vgpr30
                                        ; implicit-def: $vgpr28
; %bb.34:                               ;   in Loop: Header=BB31_7 Depth=1
	s_andn2_saveexec_b64 s[8:9], s[8:9]
	s_cbranch_execz .LBB31_44
; %bb.35:                               ;   in Loop: Header=BB31_7 Depth=1
	v_and_b32_e32 v39, 0x3ff, v17
	v_cmp_ne_u32_e32 vcc, 0, v30
                                        ; implicit-def: $vgpr16
	s_and_saveexec_b64 s[10:11], vcc
	s_xor_b64 s[10:11], exec, s[10:11]
; %bb.36:                               ;   in Loop: Header=BB31_7 Depth=1
	v_lshlrev_b32_e32 v16, 31, v28
	v_lshlrev_b32_e32 v28, 23, v30
	v_lshlrev_b32_e32 v30, 13, v39
	v_or3_b32 v16, v28, v16, v30
	v_add_u32_e32 v16, 0x38000000, v16
                                        ; implicit-def: $vgpr28
                                        ; implicit-def: $vgpr39
; %bb.37:                               ;   in Loop: Header=BB31_7 Depth=1
	s_andn2_saveexec_b64 s[10:11], s[10:11]
	s_cbranch_execz .LBB31_43
; %bb.38:                               ;   in Loop: Header=BB31_7 Depth=1
	v_cmp_ne_u32_e32 vcc, 0, v39
                                        ; implicit-def: $vgpr16
	s_and_saveexec_b64 s[20:21], vcc
	s_xor_b64 s[20:21], exec, s[20:21]
; %bb.39:                               ;   in Loop: Header=BB31_7 Depth=1
	v_ffbh_u32_e32 v16, v39
	v_xor_b32_e32 v30, 31, v16
	v_sub_u32_e32 v30, 9, v30
	v_lshlrev_b32_e32 v30, v30, v17
	v_lshl_or_b32 v28, v28, 31, v38
	v_lshlrev_b32_e32 v16, 23, v16
	v_lshlrev_b32_e32 v30, 14, v30
	v_sub_u32_e32 v16, v28, v16
	v_and_or_b32 v16, v30, s37, v16
                                        ; implicit-def: $vgpr28
; %bb.40:                               ;   in Loop: Header=BB31_7 Depth=1
	s_andn2_saveexec_b64 s[20:21], s[20:21]
; %bb.41:                               ;   in Loop: Header=BB31_7 Depth=1
	v_lshlrev_b32_e32 v16, 31, v28
; %bb.42:                               ;   in Loop: Header=BB31_7 Depth=1
	s_or_b64 exec, exec, s[20:21]
.LBB31_43:                              ;   in Loop: Header=BB31_7 Depth=1
	s_or_b64 exec, exec, s[10:11]
.LBB31_44:                              ;   in Loop: Header=BB31_7 Depth=1
	s_or_b64 exec, exec, s[8:9]
	v_bfe_u32 v30, v17, 26, 5
	v_cmp_lt_i32_e32 vcc, 30, v30
	v_and_b32_e32 v28, 0x80000000, v17
	s_and_saveexec_b64 s[8:9], vcc
	s_xor_b64 s[8:9], exec, s[8:9]
; %bb.45:                               ;   in Loop: Header=BB31_7 Depth=1
	v_and_b32_e32 v28, 0x80000000, v17
	v_lshlrev_b32_sdwa v17, v37, v17 dst_sel:DWORD dst_unused:UNUSED_PAD src0_sel:DWORD src1_sel:WORD_1
	v_or3_b32 v28, v17, v28, s35
                                        ; implicit-def: $vgpr17
                                        ; implicit-def: $vgpr30
; %bb.46:                               ;   in Loop: Header=BB31_7 Depth=1
	s_andn2_saveexec_b64 s[8:9], s[8:9]
	s_cbranch_execz .LBB31_54
; %bb.47:                               ;   in Loop: Header=BB31_7 Depth=1
	v_and_b32_sdwa v39, v17, s36 dst_sel:DWORD dst_unused:UNUSED_PAD src0_sel:WORD_1 src1_sel:DWORD
	v_cmp_ne_u32_e32 vcc, 0, v30
	s_and_saveexec_b64 s[10:11], vcc
	s_xor_b64 s[10:11], exec, s[10:11]
; %bb.48:                               ;   in Loop: Header=BB31_7 Depth=1
	v_and_b32_e32 v17, 0x80000000, v17
	v_lshlrev_b32_e32 v28, 23, v30
	v_lshlrev_b32_e32 v30, 13, v39
	v_or3_b32 v17, v28, v17, v30
	v_add_u32_e32 v28, 0x38000000, v17
                                        ; implicit-def: $vgpr39
                                        ; implicit-def: $vgpr17
; %bb.49:                               ;   in Loop: Header=BB31_7 Depth=1
	s_andn2_saveexec_b64 s[10:11], s[10:11]
	s_cbranch_execz .LBB31_53
; %bb.50:                               ;   in Loop: Header=BB31_7 Depth=1
	v_cmp_ne_u32_e32 vcc, 0, v39
	s_and_saveexec_b64 s[20:21], vcc
	s_xor_b64 s[20:21], exec, s[20:21]
; %bb.51:                               ;   in Loop: Header=BB31_7 Depth=1
	v_ffbh_u32_e32 v28, v39
	v_xor_b32_e32 v30, 31, v28
	v_sub_u32_e32 v30, 9, v30
	v_lshlrev_b32_sdwa v30, v30, v17 dst_sel:DWORD dst_unused:UNUSED_PAD src0_sel:DWORD src1_sel:WORD_1
	v_and_b32_e32 v17, 0x80000000, v17
	v_or_b32_e32 v17, 0x43000000, v17
	v_lshlrev_b32_e32 v28, 23, v28
	v_lshlrev_b32_e32 v30, 14, v30
	v_sub_u32_e32 v17, v17, v28
	v_and_or_b32 v28, v30, s37, v17
; %bb.52:                               ;   in Loop: Header=BB31_7 Depth=1
	s_andn2_saveexec_b64 s[20:21], s[20:21]
	s_or_b64 exec, exec, s[20:21]
.LBB31_53:                              ;   in Loop: Header=BB31_7 Depth=1
	s_or_b64 exec, exec, s[10:11]
.LBB31_54:                              ;   in Loop: Header=BB31_7 Depth=1
	s_or_b64 exec, exec, s[8:9]
	v_add_u32_e32 v40, 1, v24
	v_mov_b32_e32 v41, v25
	v_lshlrev_b64 v[40:41], 2, v[40:41]
	v_mov_b32_e32 v17, s1
	v_add_co_u32_e32 v40, vcc, s0, v40
	v_add_u32_e32 v42, 2, v24
	v_mov_b32_e32 v43, v25
	v_addc_co_u32_e32 v41, vcc, v17, v41, vcc
	v_lshlrev_b64 v[42:43], 2, v[42:43]
	v_add_co_u32_e32 v42, vcc, s0, v42
	v_add_u32_e32 v24, 3, v24
	v_addc_co_u32_e32 v43, vcc, v17, v43, vcc
	global_load_dword v30, v[40:41], off
	global_load_dword v39, v[42:43], off
	v_lshlrev_b64 v[40:41], 2, v[24:25]
	v_add_u32_e32 v44, v23, v29
	v_add_co_u32_e32 v40, vcc, s0, v40
	v_add_u32_e32 v24, 4, v44
	v_addc_co_u32_e32 v41, vcc, v17, v41, vcc
	v_lshlrev_b64 v[42:43], 2, v[24:25]
	v_add_co_u32_e32 v42, vcc, s0, v42
	v_addc_co_u32_e32 v43, vcc, v17, v43, vcc
	global_load_dword v45, v[40:41], off
	global_load_dword v46, v[42:43], off
	v_add_u32_e32 v24, 20, v44
	v_lshlrev_b64 v[40:41], 2, v[24:25]
	v_add_co_u32_e32 v40, vcc, s0, v40
	v_addc_co_u32_e32 v41, vcc, v17, v41, vcc
	global_load_dword v24, v[40:41], off
	s_waitcnt vmcnt(4)
	v_lshrrev_b32_e32 v17, v22, v30
	s_waitcnt vmcnt(3)
	v_lshrrev_b32_e32 v40, v22, v39
	v_bfe_u32 v30, v30, v22, 6
	v_bfe_u32 v39, v39, v22, 6
	;; [unrolled: 1-line block ×3, first 2 shown]
	v_cvt_f32_ubyte0_e32 v41, v30
	v_bfe_u32 v30, v40, 8, 6
	v_lshrrev_b32_e32 v54, 10, v17
	v_lshrrev_b32_e32 v17, 2, v17
	v_cvt_f32_ubyte0_e32 v43, v39
	v_lshrrev_b32_e32 v56, 2, v40
	v_lshrrev_b32_e32 v58, 10, v40
	v_cvt_f32_ubyte0_e32 v40, v42
	v_cvt_f32_ubyte0_e32 v42, v30
	s_waitcnt vmcnt(1)
	v_bfe_u32 v48, v46, 12, 4
	v_bfe_u32 v47, v46, 8, 4
	v_and_b32_e32 v17, 48, v17
	v_bfe_u32 v50, v46, 24, 4
	v_lshrrev_b32_e32 v53, 28, v46
	v_bfe_u32 v39, v46, 4, 4
	v_and_b32_e32 v44, 15, v46
	v_bfe_u32 v51, v46, 20, 4
	v_bfe_u32 v49, v46, 16, 4
	v_cvt_f32_ubyte0_e32 v47, v47
	v_cvt_f32_ubyte0_e32 v46, v48
	v_pk_mul_f32 v[40:41], v[16:17], v[40:41] op_sel_hi:[0,1]
	v_pk_mul_f32 v[42:43], v[28:29], v[42:43] op_sel_hi:[0,1]
	v_lshrrev_b32_e32 v52, v22, v45
	v_cvt_f32_ubyte0_e32 v45, v44
	v_cvt_f32_ubyte0_e32 v44, v39
	;; [unrolled: 1-line block ×6, first 2 shown]
	v_pk_fma_f32 v[46:47], v[40:41], v[46:47], v[42:43] neg_lo:[0,0,1] neg_hi:[0,0,1]
	v_pk_fma_f32 v[44:45], v[40:41], v[44:45], v[42:43] neg_lo:[0,0,1] neg_hi:[0,0,1]
	;; [unrolled: 1-line block ×4, first 2 shown]
	v_pk_mul_f32 v[42:43], v[10:11], v[46:47]
	v_pk_fma_f32 v[42:43], v[26:27], v[44:45], v[42:43]
	v_pk_fma_f32 v[42:43], v[18:19], v[48:49], v[42:43]
	v_bfe_u32 v55, v52, 8, 4
	v_pk_fma_f32 v[40:41], v[12:13], v[40:41], v[42:43]
	v_bfe_u32 v57, v52, 12, 4
	v_lshrrev_b32_e32 v59, 4, v52
	v_and_or_b32 v53, v54, 48, v55
	v_and_b32_e32 v54, 48, v56
	v_add_f32_e32 v41, 0, v41
	v_add_f32_e32 v46, v40, v41
	v_and_or_b32 v40, v59, 15, v54
	v_and_or_b32 v41, v58, 48, v57
	v_cvt_f32_ubyte0_e32 v41, v41
	v_cvt_f32_ubyte0_e32 v40, v40
	v_and_or_b32 v17, v52, 15, v17
	v_pk_mul_f32 v[40:41], v[28:29], v[40:41] op_sel_hi:[0,1]
	s_waitcnt vmcnt(0)
	v_and_b32_e32 v28, 15, v24
	v_bfe_u32 v42, v24, 4, 4
	v_cvt_f32_ubyte0_e32 v53, v53
	v_cvt_f32_ubyte0_e32 v52, v17
	;; [unrolled: 1-line block ×4, first 2 shown]
	v_bfe_u32 v28, v24, 8, 4
	v_bfe_u32 v44, v24, 12, 4
	v_pk_mul_f32 v[16:17], v[16:17], v[52:53] op_sel_hi:[0,1]
	v_cvt_f32_ubyte0_e32 v45, v44
	v_cvt_f32_ubyte0_e32 v44, v28
	v_pk_fma_f32 v[44:45], v[16:17], v[44:45], v[40:41] neg_lo:[0,0,1] neg_hi:[0,0,1]
	v_bfe_u32 v30, v24, 24, 4
	v_lshrrev_b32_e32 v39, 28, v24
	v_pk_fma_f32 v[42:43], v[16:17], v[42:43], v[40:41] neg_lo:[0,0,1] neg_hi:[0,0,1]
	v_pk_mul_f32 v[44:45], v[6:7], v[44:45]
	v_bfe_u32 v28, v24, 16, 4
	v_bfe_u32 v24, v24, 20, 4
	v_pk_fma_f32 v[42:43], v[20:21], v[42:43], v[44:45]
	v_cvt_f32_ubyte0_e32 v45, v24
	v_cvt_f32_ubyte0_e32 v44, v28
	v_pk_fma_f32 v[44:45], v[16:17], v[44:45], v[40:41] neg_lo:[0,0,1] neg_hi:[0,0,1]
	v_pk_fma_f32 v[42:43], v[14:15], v[44:45], v[42:43]
	v_cvt_f32_ubyte0_e32 v45, v39
	v_cvt_f32_ubyte0_e32 v44, v30
	v_pk_fma_f32 v[16:17], v[16:17], v[44:45], v[40:41] neg_lo:[0,0,1] neg_hi:[0,0,1]
	v_pk_fma_f32 v[16:17], v[8:9], v[16:17], v[42:43]
	v_add_f32_e32 v16, v16, v46
	v_add_f32_e32 v16, v17, v16
	;; [unrolled: 1-line block ×3, first 2 shown]
	s_andn2_b64 vcc, exec, s[12:13]
	s_cbranch_vccnz .LBB31_31
.LBB31_55:                              ;   in Loop: Header=BB31_7 Depth=1
	v_add_u32_e32 v24, s30, v23
	v_lshlrev_b64 v[16:17], 2, v[24:25]
	v_mov_b32_e32 v28, s1
	v_add_co_u32_e32 v16, vcc, s0, v16
	v_addc_co_u32_e32 v17, vcc, v28, v17, vcc
	global_load_dword v17, v[16:17], off
                                        ; implicit-def: $vgpr16
	s_waitcnt vmcnt(0)
	v_bfe_u32 v30, v17, 10, 5
	v_bfe_u32 v28, v17, 15, 1
	v_cmp_lt_i32_e32 vcc, 30, v30
	s_and_saveexec_b64 s[8:9], vcc
	s_xor_b64 s[8:9], exec, s[8:9]
; %bb.56:                               ;   in Loop: Header=BB31_7 Depth=1
	v_lshlrev_b32_e32 v16, 31, v28
	v_lshlrev_b32_sdwa v28, v37, v17 dst_sel:DWORD dst_unused:UNUSED_PAD src0_sel:DWORD src1_sel:WORD_0
	v_or3_b32 v16, v16, v28, s35
                                        ; implicit-def: $vgpr30
                                        ; implicit-def: $vgpr28
; %bb.57:                               ;   in Loop: Header=BB31_7 Depth=1
	s_andn2_saveexec_b64 s[8:9], s[8:9]
	s_cbranch_execz .LBB31_67
; %bb.58:                               ;   in Loop: Header=BB31_7 Depth=1
	v_and_b32_e32 v39, 0x3ff, v17
	v_cmp_ne_u32_e32 vcc, 0, v30
                                        ; implicit-def: $vgpr16
	s_and_saveexec_b64 s[10:11], vcc
	s_xor_b64 s[10:11], exec, s[10:11]
; %bb.59:                               ;   in Loop: Header=BB31_7 Depth=1
	v_lshlrev_b32_e32 v16, 31, v28
	v_lshlrev_b32_e32 v28, 23, v30
	;; [unrolled: 1-line block ×3, first 2 shown]
	v_or3_b32 v16, v28, v16, v30
	v_add_u32_e32 v16, 0x38000000, v16
                                        ; implicit-def: $vgpr28
                                        ; implicit-def: $vgpr39
; %bb.60:                               ;   in Loop: Header=BB31_7 Depth=1
	s_andn2_saveexec_b64 s[10:11], s[10:11]
	s_cbranch_execz .LBB31_66
; %bb.61:                               ;   in Loop: Header=BB31_7 Depth=1
	v_cmp_ne_u32_e32 vcc, 0, v39
                                        ; implicit-def: $vgpr16
	s_and_saveexec_b64 s[20:21], vcc
	s_xor_b64 s[20:21], exec, s[20:21]
; %bb.62:                               ;   in Loop: Header=BB31_7 Depth=1
	v_ffbh_u32_e32 v16, v39
	v_xor_b32_e32 v30, 31, v16
	v_sub_u32_e32 v30, 9, v30
	v_lshlrev_b32_e32 v30, v30, v17
	v_lshl_or_b32 v28, v28, 31, v38
	v_lshlrev_b32_e32 v16, 23, v16
	v_lshlrev_b32_e32 v30, 14, v30
	v_sub_u32_e32 v16, v28, v16
	v_and_or_b32 v16, v30, s37, v16
                                        ; implicit-def: $vgpr28
; %bb.63:                               ;   in Loop: Header=BB31_7 Depth=1
	s_andn2_saveexec_b64 s[20:21], s[20:21]
; %bb.64:                               ;   in Loop: Header=BB31_7 Depth=1
	v_lshlrev_b32_e32 v16, 31, v28
; %bb.65:                               ;   in Loop: Header=BB31_7 Depth=1
	s_or_b64 exec, exec, s[20:21]
.LBB31_66:                              ;   in Loop: Header=BB31_7 Depth=1
	s_or_b64 exec, exec, s[10:11]
.LBB31_67:                              ;   in Loop: Header=BB31_7 Depth=1
	s_or_b64 exec, exec, s[8:9]
	v_bfe_u32 v30, v17, 26, 5
	v_cmp_lt_i32_e32 vcc, 30, v30
	v_and_b32_e32 v28, 0x80000000, v17
	s_and_saveexec_b64 s[8:9], vcc
	s_xor_b64 s[8:9], exec, s[8:9]
; %bb.68:                               ;   in Loop: Header=BB31_7 Depth=1
	v_and_b32_e32 v28, 0x80000000, v17
	v_lshlrev_b32_sdwa v17, v37, v17 dst_sel:DWORD dst_unused:UNUSED_PAD src0_sel:DWORD src1_sel:WORD_1
	v_or3_b32 v28, v17, v28, s35
                                        ; implicit-def: $vgpr17
                                        ; implicit-def: $vgpr30
; %bb.69:                               ;   in Loop: Header=BB31_7 Depth=1
	s_andn2_saveexec_b64 s[8:9], s[8:9]
	s_cbranch_execz .LBB31_77
; %bb.70:                               ;   in Loop: Header=BB31_7 Depth=1
	v_and_b32_sdwa v39, v17, s36 dst_sel:DWORD dst_unused:UNUSED_PAD src0_sel:WORD_1 src1_sel:DWORD
	v_cmp_ne_u32_e32 vcc, 0, v30
	s_and_saveexec_b64 s[10:11], vcc
	s_xor_b64 s[10:11], exec, s[10:11]
; %bb.71:                               ;   in Loop: Header=BB31_7 Depth=1
	v_and_b32_e32 v17, 0x80000000, v17
	v_lshlrev_b32_e32 v28, 23, v30
	v_lshlrev_b32_e32 v30, 13, v39
	v_or3_b32 v17, v28, v17, v30
	v_add_u32_e32 v28, 0x38000000, v17
                                        ; implicit-def: $vgpr39
                                        ; implicit-def: $vgpr17
; %bb.72:                               ;   in Loop: Header=BB31_7 Depth=1
	s_andn2_saveexec_b64 s[10:11], s[10:11]
	s_cbranch_execz .LBB31_76
; %bb.73:                               ;   in Loop: Header=BB31_7 Depth=1
	v_cmp_ne_u32_e32 vcc, 0, v39
	s_and_saveexec_b64 s[20:21], vcc
	s_xor_b64 s[20:21], exec, s[20:21]
; %bb.74:                               ;   in Loop: Header=BB31_7 Depth=1
	v_ffbh_u32_e32 v28, v39
	v_xor_b32_e32 v30, 31, v28
	v_sub_u32_e32 v30, 9, v30
	v_lshlrev_b32_sdwa v30, v30, v17 dst_sel:DWORD dst_unused:UNUSED_PAD src0_sel:DWORD src1_sel:WORD_1
	v_and_b32_e32 v17, 0x80000000, v17
	v_or_b32_e32 v17, 0x43000000, v17
	v_lshlrev_b32_e32 v28, 23, v28
	v_lshlrev_b32_e32 v30, 14, v30
	v_sub_u32_e32 v17, v17, v28
	v_and_or_b32 v28, v30, s37, v17
; %bb.75:                               ;   in Loop: Header=BB31_7 Depth=1
	s_andn2_saveexec_b64 s[20:21], s[20:21]
	s_or_b64 exec, exec, s[20:21]
.LBB31_76:                              ;   in Loop: Header=BB31_7 Depth=1
	s_or_b64 exec, exec, s[10:11]
.LBB31_77:                              ;   in Loop: Header=BB31_7 Depth=1
	s_or_b64 exec, exec, s[8:9]
	v_add_u32_e32 v40, 1, v24
	v_mov_b32_e32 v41, v25
	v_lshlrev_b64 v[40:41], 2, v[40:41]
	v_mov_b32_e32 v17, s1
	v_add_co_u32_e32 v40, vcc, s0, v40
	v_add_u32_e32 v42, 2, v24
	v_mov_b32_e32 v43, v25
	v_addc_co_u32_e32 v41, vcc, v17, v41, vcc
	v_lshlrev_b64 v[42:43], 2, v[42:43]
	v_add_co_u32_e32 v42, vcc, s0, v42
	v_add_u32_e32 v24, 3, v24
	v_addc_co_u32_e32 v43, vcc, v17, v43, vcc
	global_load_dword v30, v[40:41], off
	global_load_dword v39, v[42:43], off
	v_lshlrev_b64 v[40:41], 2, v[24:25]
	v_add_u32_e32 v44, v23, v31
	v_add_co_u32_e32 v40, vcc, s0, v40
	v_add_u32_e32 v24, 4, v44
	v_addc_co_u32_e32 v41, vcc, v17, v41, vcc
	v_lshlrev_b64 v[42:43], 2, v[24:25]
	v_add_co_u32_e32 v42, vcc, s0, v42
	v_addc_co_u32_e32 v43, vcc, v17, v43, vcc
	global_load_dword v45, v[40:41], off
	global_load_dword v46, v[42:43], off
	v_add_u32_e32 v24, 20, v44
	v_lshlrev_b64 v[40:41], 2, v[24:25]
	v_add_co_u32_e32 v40, vcc, s0, v40
	v_addc_co_u32_e32 v41, vcc, v17, v41, vcc
	global_load_dword v24, v[40:41], off
	s_waitcnt vmcnt(4)
	v_lshrrev_b32_e32 v17, v22, v30
	s_waitcnt vmcnt(3)
	v_lshrrev_b32_e32 v40, v22, v39
	v_bfe_u32 v30, v30, v22, 6
	v_bfe_u32 v39, v39, v22, 6
	v_bfe_u32 v42, v17, 8, 6
	v_cvt_f32_ubyte0_e32 v41, v30
	v_bfe_u32 v30, v40, 8, 6
	v_lshrrev_b32_e32 v54, 10, v17
	v_lshrrev_b32_e32 v17, 2, v17
	v_cvt_f32_ubyte0_e32 v43, v39
	v_lshrrev_b32_e32 v56, 2, v40
	v_lshrrev_b32_e32 v58, 10, v40
	v_cvt_f32_ubyte0_e32 v40, v42
	v_cvt_f32_ubyte0_e32 v42, v30
	s_waitcnt vmcnt(1)
	v_bfe_u32 v48, v46, 12, 4
	v_bfe_u32 v47, v46, 8, 4
	v_and_b32_e32 v17, 48, v17
	v_bfe_u32 v50, v46, 24, 4
	v_lshrrev_b32_e32 v53, 28, v46
	v_bfe_u32 v39, v46, 4, 4
	v_and_b32_e32 v44, 15, v46
	v_bfe_u32 v51, v46, 20, 4
	v_bfe_u32 v49, v46, 16, 4
	v_cvt_f32_ubyte0_e32 v47, v47
	v_cvt_f32_ubyte0_e32 v46, v48
	v_pk_mul_f32 v[40:41], v[16:17], v[40:41] op_sel_hi:[0,1]
	v_pk_mul_f32 v[42:43], v[28:29], v[42:43] op_sel_hi:[0,1]
	v_lshrrev_b32_e32 v52, v22, v45
	v_cvt_f32_ubyte0_e32 v45, v44
	v_cvt_f32_ubyte0_e32 v44, v39
	;; [unrolled: 1-line block ×6, first 2 shown]
	v_pk_fma_f32 v[46:47], v[40:41], v[46:47], v[42:43] neg_lo:[0,0,1] neg_hi:[0,0,1]
	v_pk_fma_f32 v[44:45], v[40:41], v[44:45], v[42:43] neg_lo:[0,0,1] neg_hi:[0,0,1]
	;; [unrolled: 1-line block ×4, first 2 shown]
	v_pk_mul_f32 v[42:43], v[10:11], v[46:47]
	v_pk_fma_f32 v[42:43], v[26:27], v[44:45], v[42:43]
	v_pk_fma_f32 v[42:43], v[18:19], v[48:49], v[42:43]
	v_bfe_u32 v55, v52, 8, 4
	v_pk_fma_f32 v[40:41], v[12:13], v[40:41], v[42:43]
	v_bfe_u32 v57, v52, 12, 4
	v_lshrrev_b32_e32 v59, 4, v52
	v_and_or_b32 v53, v54, 48, v55
	v_and_b32_e32 v54, 48, v56
	v_add_f32_e32 v41, 0, v41
	v_add_f32_e32 v46, v40, v41
	v_and_or_b32 v40, v59, 15, v54
	v_and_or_b32 v41, v58, 48, v57
	v_cvt_f32_ubyte0_e32 v41, v41
	v_cvt_f32_ubyte0_e32 v40, v40
	v_and_or_b32 v17, v52, 15, v17
	v_pk_mul_f32 v[40:41], v[28:29], v[40:41] op_sel_hi:[0,1]
	s_waitcnt vmcnt(0)
	v_and_b32_e32 v28, 15, v24
	v_bfe_u32 v42, v24, 4, 4
	v_cvt_f32_ubyte0_e32 v53, v53
	v_cvt_f32_ubyte0_e32 v52, v17
	;; [unrolled: 1-line block ×4, first 2 shown]
	v_bfe_u32 v28, v24, 8, 4
	v_bfe_u32 v44, v24, 12, 4
	v_pk_mul_f32 v[16:17], v[16:17], v[52:53] op_sel_hi:[0,1]
	v_cvt_f32_ubyte0_e32 v45, v44
	v_cvt_f32_ubyte0_e32 v44, v28
	v_pk_fma_f32 v[44:45], v[16:17], v[44:45], v[40:41] neg_lo:[0,0,1] neg_hi:[0,0,1]
	v_bfe_u32 v30, v24, 24, 4
	v_lshrrev_b32_e32 v39, 28, v24
	v_pk_fma_f32 v[42:43], v[16:17], v[42:43], v[40:41] neg_lo:[0,0,1] neg_hi:[0,0,1]
	v_pk_mul_f32 v[44:45], v[6:7], v[44:45]
	v_bfe_u32 v28, v24, 16, 4
	v_bfe_u32 v24, v24, 20, 4
	v_pk_fma_f32 v[42:43], v[20:21], v[42:43], v[44:45]
	v_cvt_f32_ubyte0_e32 v45, v24
	v_cvt_f32_ubyte0_e32 v44, v28
	v_pk_fma_f32 v[44:45], v[16:17], v[44:45], v[40:41] neg_lo:[0,0,1] neg_hi:[0,0,1]
	v_pk_fma_f32 v[42:43], v[14:15], v[44:45], v[42:43]
	v_cvt_f32_ubyte0_e32 v45, v39
	v_cvt_f32_ubyte0_e32 v44, v30
	v_pk_fma_f32 v[16:17], v[16:17], v[44:45], v[40:41] neg_lo:[0,0,1] neg_hi:[0,0,1]
	v_pk_fma_f32 v[16:17], v[8:9], v[16:17], v[42:43]
	v_add_f32_e32 v16, v16, v46
	v_add_f32_e32 v16, v17, v16
	;; [unrolled: 1-line block ×3, first 2 shown]
	s_andn2_b64 vcc, exec, s[14:15]
	s_cbranch_vccnz .LBB31_6
.LBB31_78:                              ;   in Loop: Header=BB31_7 Depth=1
	v_add_u32_e32 v24, s31, v23
	v_lshlrev_b64 v[16:17], 2, v[24:25]
	v_mov_b32_e32 v28, s1
	v_add_co_u32_e32 v16, vcc, s0, v16
	v_addc_co_u32_e32 v17, vcc, v28, v17, vcc
	global_load_dword v17, v[16:17], off
                                        ; implicit-def: $vgpr16
	s_waitcnt vmcnt(0)
	v_bfe_u32 v30, v17, 10, 5
	v_bfe_u32 v28, v17, 15, 1
	v_cmp_lt_i32_e32 vcc, 30, v30
	s_and_saveexec_b64 s[8:9], vcc
	s_xor_b64 s[8:9], exec, s[8:9]
; %bb.79:                               ;   in Loop: Header=BB31_7 Depth=1
	v_lshlrev_b32_e32 v16, 31, v28
	v_lshlrev_b32_sdwa v28, v37, v17 dst_sel:DWORD dst_unused:UNUSED_PAD src0_sel:DWORD src1_sel:WORD_0
	v_or3_b32 v16, v16, v28, s35
                                        ; implicit-def: $vgpr30
                                        ; implicit-def: $vgpr28
; %bb.80:                               ;   in Loop: Header=BB31_7 Depth=1
	s_andn2_saveexec_b64 s[8:9], s[8:9]
	s_cbranch_execz .LBB31_90
; %bb.81:                               ;   in Loop: Header=BB31_7 Depth=1
	v_and_b32_e32 v39, 0x3ff, v17
	v_cmp_ne_u32_e32 vcc, 0, v30
                                        ; implicit-def: $vgpr16
	s_and_saveexec_b64 s[10:11], vcc
	s_xor_b64 s[10:11], exec, s[10:11]
; %bb.82:                               ;   in Loop: Header=BB31_7 Depth=1
	v_lshlrev_b32_e32 v16, 31, v28
	v_lshlrev_b32_e32 v28, 23, v30
	;; [unrolled: 1-line block ×3, first 2 shown]
	v_or3_b32 v16, v28, v16, v30
	v_add_u32_e32 v16, 0x38000000, v16
                                        ; implicit-def: $vgpr28
                                        ; implicit-def: $vgpr39
; %bb.83:                               ;   in Loop: Header=BB31_7 Depth=1
	s_andn2_saveexec_b64 s[10:11], s[10:11]
	s_cbranch_execz .LBB31_89
; %bb.84:                               ;   in Loop: Header=BB31_7 Depth=1
	v_cmp_ne_u32_e32 vcc, 0, v39
                                        ; implicit-def: $vgpr16
	s_and_saveexec_b64 s[20:21], vcc
	s_xor_b64 s[20:21], exec, s[20:21]
; %bb.85:                               ;   in Loop: Header=BB31_7 Depth=1
	v_ffbh_u32_e32 v16, v39
	v_xor_b32_e32 v30, 31, v16
	v_sub_u32_e32 v30, 9, v30
	v_lshlrev_b32_e32 v30, v30, v17
	v_lshl_or_b32 v28, v28, 31, v38
	v_lshlrev_b32_e32 v16, 23, v16
	v_lshlrev_b32_e32 v30, 14, v30
	v_sub_u32_e32 v16, v28, v16
	v_and_or_b32 v16, v30, s37, v16
                                        ; implicit-def: $vgpr28
; %bb.86:                               ;   in Loop: Header=BB31_7 Depth=1
	s_andn2_saveexec_b64 s[20:21], s[20:21]
; %bb.87:                               ;   in Loop: Header=BB31_7 Depth=1
	v_lshlrev_b32_e32 v16, 31, v28
; %bb.88:                               ;   in Loop: Header=BB31_7 Depth=1
	s_or_b64 exec, exec, s[20:21]
.LBB31_89:                              ;   in Loop: Header=BB31_7 Depth=1
	s_or_b64 exec, exec, s[10:11]
.LBB31_90:                              ;   in Loop: Header=BB31_7 Depth=1
	s_or_b64 exec, exec, s[8:9]
	v_bfe_u32 v30, v17, 26, 5
	v_cmp_lt_i32_e32 vcc, 30, v30
	v_and_b32_e32 v28, 0x80000000, v17
	s_and_saveexec_b64 s[8:9], vcc
	s_xor_b64 s[8:9], exec, s[8:9]
; %bb.91:                               ;   in Loop: Header=BB31_7 Depth=1
	v_and_b32_e32 v28, 0x80000000, v17
	v_lshlrev_b32_sdwa v17, v37, v17 dst_sel:DWORD dst_unused:UNUSED_PAD src0_sel:DWORD src1_sel:WORD_1
	v_or3_b32 v28, v17, v28, s35
                                        ; implicit-def: $vgpr17
                                        ; implicit-def: $vgpr30
; %bb.92:                               ;   in Loop: Header=BB31_7 Depth=1
	s_andn2_saveexec_b64 s[8:9], s[8:9]
	s_cbranch_execz .LBB31_5
; %bb.93:                               ;   in Loop: Header=BB31_7 Depth=1
	v_and_b32_sdwa v39, v17, s36 dst_sel:DWORD dst_unused:UNUSED_PAD src0_sel:WORD_1 src1_sel:DWORD
	v_cmp_ne_u32_e32 vcc, 0, v30
	s_and_saveexec_b64 s[10:11], vcc
	s_xor_b64 s[10:11], exec, s[10:11]
; %bb.94:                               ;   in Loop: Header=BB31_7 Depth=1
	v_and_b32_e32 v17, 0x80000000, v17
	v_lshlrev_b32_e32 v28, 23, v30
	v_lshlrev_b32_e32 v30, 13, v39
	v_or3_b32 v17, v28, v17, v30
	v_add_u32_e32 v28, 0x38000000, v17
                                        ; implicit-def: $vgpr39
                                        ; implicit-def: $vgpr17
; %bb.95:                               ;   in Loop: Header=BB31_7 Depth=1
	s_andn2_saveexec_b64 s[10:11], s[10:11]
	s_cbranch_execz .LBB31_4
; %bb.96:                               ;   in Loop: Header=BB31_7 Depth=1
	v_cmp_ne_u32_e32 vcc, 0, v39
	s_and_saveexec_b64 s[20:21], vcc
	s_xor_b64 s[20:21], exec, s[20:21]
	s_cbranch_execz .LBB31_3
; %bb.97:                               ;   in Loop: Header=BB31_7 Depth=1
	v_ffbh_u32_e32 v28, v39
	v_xor_b32_e32 v30, 31, v28
	v_sub_u32_e32 v30, 9, v30
	v_lshlrev_b32_sdwa v30, v30, v17 dst_sel:DWORD dst_unused:UNUSED_PAD src0_sel:DWORD src1_sel:WORD_1
	v_and_b32_e32 v17, 0x80000000, v17
	v_or_b32_e32 v17, 0x43000000, v17
	v_lshlrev_b32_e32 v28, 23, v28
	v_lshlrev_b32_e32 v30, 14, v30
	v_sub_u32_e32 v17, v17, v28
	v_and_or_b32 v28, v30, s37, v17
	s_branch .LBB31_3
.LBB31_98:
	s_or_b64 exec, exec, s[6:7]
.LBB31_99:
	s_or_b64 exec, exec, s[4:5]
	v_mbcnt_lo_u32_b32 v1, -1, 0
	v_mbcnt_hi_u32_b32 v8, -1, v1
	v_and_b32_e32 v9, 63, v8
	v_cmp_gt_u32_e32 vcc, 48, v9
	v_cndmask_b32_e64 v1, 0, 1, vcc
	v_lshlrev_b32_e32 v1, 4, v1
	v_add_lshl_u32 v1, v1, v8, 2
	ds_bpermute_b32 v7, v1, v2
	v_cmp_gt_u32_e32 vcc, 56, v9
	v_cndmask_b32_e64 v6, 0, 1, vcc
	v_lshlrev_b32_e32 v6, 3, v6
	v_add_lshl_u32 v6, v6, v8, 2
	s_waitcnt lgkmcnt(0)
	v_add_f32_e32 v7, v2, v7
	ds_bpermute_b32 v10, v6, v7
	v_cmp_gt_u32_e32 vcc, 60, v9
	v_cndmask_b32_e64 v2, 0, 1, vcc
	v_lshlrev_b32_e32 v2, 2, v2
	v_add_lshl_u32 v2, v2, v8, 2
	s_waitcnt lgkmcnt(0)
	v_add_f32_e32 v10, v7, v10
	;; [unrolled: 7-line block ×3, first 2 shown]
	ds_bpermute_b32 v11, v7, v10
	v_cmp_ne_u32_e32 vcc, 63, v9
	v_addc_co_u32_e32 v8, vcc, 0, v8, vcc
	v_lshlrev_b32_e32 v8, 2, v8
	s_waitcnt lgkmcnt(0)
	v_add_f32_e32 v11, v10, v11
	ds_bpermute_b32 v12, v8, v11
	v_and_b32_e32 v10, 31, v0
	v_cmp_eq_u32_e64 s[2:3], 0, v10
	v_lshrrev_b32_e32 v9, 3, v0
	s_and_saveexec_b64 s[0:1], s[2:3]
	s_cbranch_execz .LBB31_101
; %bb.100:
	s_waitcnt lgkmcnt(0)
	v_add_f32_e32 v11, v11, v12
	ds_write_b32 v9, v11
.LBB31_101:
	s_or_b64 exec, exec, s[0:1]
	s_add_i32 s24, s24, 31
	s_lshr_b32 s0, s24, 5
	v_cmp_gt_u32_e64 s[0:1], s0, v0
	v_lshlrev_b32_e32 v10, 2, v10
	v_mov_b32_e32 v11, 0
	s_waitcnt lgkmcnt(0)
	s_barrier
	s_and_saveexec_b64 s[4:5], s[0:1]
	s_cbranch_execz .LBB31_103
; %bb.102:
	ds_read_b32 v11, v10
.LBB31_103:
	s_or_b64 exec, exec, s[4:5]
	v_cmp_gt_u32_e64 s[4:5], 32, v0
	s_and_saveexec_b64 s[6:7], s[4:5]
	s_cbranch_execz .LBB31_105
; %bb.104:
	s_waitcnt lgkmcnt(0)
	ds_bpermute_b32 v12, v1, v11
	s_waitcnt lgkmcnt(0)
	v_add_f32_e32 v11, v11, v12
	ds_bpermute_b32 v12, v6, v11
	s_waitcnt lgkmcnt(0)
	v_add_f32_e32 v11, v11, v12
	;; [unrolled: 3-line block ×5, first 2 shown]
.LBB31_105:
	s_or_b64 exec, exec, s[6:7]
	s_lshr_b32 s14, s18, 2
	s_cmp_lg_u32 s19, 0
	s_mov_b32 s13, 0
	v_cmp_eq_u32_e64 s[6:7], 0, v0
	s_cselect_b64 s[8:9], -1, 0
	s_and_saveexec_b64 s[10:11], s[6:7]
	s_cbranch_execz .LBB31_109
; %bb.106:
	s_add_i32 s12, s14, s23
	s_lshl_b64 s[12:13], s[12:13], 2
	s_add_u32 s12, s16, s12
	s_addc_u32 s13, s17, s13
	s_andn2_b64 vcc, exec, s[8:9]
	s_cbranch_vccnz .LBB31_108
; %bb.107:
	s_load_dword s15, s[12:13], 0x0
	s_waitcnt lgkmcnt(0)
	v_add_f32_e32 v11, s15, v11
.LBB31_108:
	v_mov_b32_e32 v0, 0
	s_waitcnt lgkmcnt(0)
	global_store_dword v0, v11, s[12:13]
.LBB31_109:
	s_or_b64 exec, exec, s[10:11]
	ds_bpermute_b32 v0, v1, v3
	s_waitcnt lgkmcnt(0)
	s_barrier
	v_add_f32_e32 v0, v3, v0
	ds_bpermute_b32 v3, v6, v0
	s_waitcnt lgkmcnt(0)
	v_add_f32_e32 v0, v0, v3
	ds_bpermute_b32 v3, v2, v0
	s_waitcnt lgkmcnt(0)
	;; [unrolled: 3-line block ×3, first 2 shown]
	v_add_f32_e32 v0, v0, v3
	ds_bpermute_b32 v3, v8, v0
	s_and_saveexec_b64 s[10:11], s[2:3]
	s_cbranch_execz .LBB31_111
; %bb.110:
	s_waitcnt lgkmcnt(0)
	v_add_f32_e32 v0, v0, v3
	ds_write_b32 v9, v0
.LBB31_111:
	s_or_b64 exec, exec, s[10:11]
	v_mov_b32_e32 v0, 0
	s_waitcnt lgkmcnt(0)
	s_barrier
	s_and_saveexec_b64 s[10:11], s[0:1]
	s_cbranch_execnz .LBB31_114
; %bb.112:
	s_or_b64 exec, exec, s[10:11]
	s_and_saveexec_b64 s[10:11], s[4:5]
	s_cbranch_execnz .LBB31_115
.LBB31_113:
	s_or_b64 exec, exec, s[10:11]
	s_and_saveexec_b64 s[10:11], s[6:7]
	s_cbranch_execnz .LBB31_116
	s_branch .LBB31_120
.LBB31_114:
	ds_read_b32 v0, v10
	s_or_b64 exec, exec, s[10:11]
	s_and_saveexec_b64 s[10:11], s[4:5]
	s_cbranch_execz .LBB31_113
.LBB31_115:
	s_waitcnt lgkmcnt(0)
	ds_bpermute_b32 v3, v1, v0
	s_waitcnt lgkmcnt(0)
	v_add_f32_e32 v0, v0, v3
	ds_bpermute_b32 v3, v6, v0
	s_waitcnt lgkmcnt(0)
	v_add_f32_e32 v0, v0, v3
	;; [unrolled: 3-line block ×5, first 2 shown]
	s_or_b64 exec, exec, s[10:11]
	s_and_saveexec_b64 s[10:11], s[6:7]
	s_cbranch_execz .LBB31_120
.LBB31_116:
	s_or_b32 s12, s23, 1
	s_cmp_ge_u32 s12, s22
	s_cbranch_scc1 .LBB31_120
; %bb.117:
	s_add_i32 s12, s14, s12
	s_mov_b32 s13, 0
	s_lshl_b64 s[12:13], s[12:13], 2
	s_add_u32 s12, s16, s12
	s_addc_u32 s13, s17, s13
	s_andn2_b64 vcc, exec, s[8:9]
	s_cbranch_vccnz .LBB31_119
; %bb.118:
	v_mov_b32_e32 v3, 0
	global_load_dword v3, v3, s[12:13]
	s_waitcnt vmcnt(0) lgkmcnt(0)
	v_add_f32_e32 v0, v0, v3
.LBB31_119:
	v_mov_b32_e32 v3, 0
	s_waitcnt lgkmcnt(0)
	global_store_dword v3, v0, s[12:13]
.LBB31_120:
	s_or_b64 exec, exec, s[10:11]
	s_waitcnt lgkmcnt(0)
	ds_bpermute_b32 v0, v1, v4
	s_waitcnt lgkmcnt(0)
	s_barrier
	v_add_f32_e32 v0, v4, v0
	ds_bpermute_b32 v3, v6, v0
	s_waitcnt lgkmcnt(0)
	v_add_f32_e32 v0, v0, v3
	ds_bpermute_b32 v3, v2, v0
	s_waitcnt lgkmcnt(0)
	;; [unrolled: 3-line block ×3, first 2 shown]
	v_add_f32_e32 v0, v0, v3
	ds_bpermute_b32 v3, v8, v0
	s_and_saveexec_b64 s[10:11], s[2:3]
	s_cbranch_execz .LBB31_122
; %bb.121:
	s_waitcnt lgkmcnt(0)
	v_add_f32_e32 v0, v0, v3
	ds_write_b32 v9, v0
.LBB31_122:
	s_or_b64 exec, exec, s[10:11]
	v_mov_b32_e32 v0, 0
	s_waitcnt lgkmcnt(0)
	s_barrier
	s_and_saveexec_b64 s[10:11], s[0:1]
	s_cbranch_execnz .LBB31_125
; %bb.123:
	s_or_b64 exec, exec, s[10:11]
	s_and_saveexec_b64 s[10:11], s[4:5]
	s_cbranch_execnz .LBB31_126
.LBB31_124:
	s_or_b64 exec, exec, s[10:11]
	s_and_saveexec_b64 s[10:11], s[6:7]
	s_cbranch_execnz .LBB31_127
	s_branch .LBB31_131
.LBB31_125:
	ds_read_b32 v0, v10
	s_or_b64 exec, exec, s[10:11]
	s_and_saveexec_b64 s[10:11], s[4:5]
	s_cbranch_execz .LBB31_124
.LBB31_126:
	s_waitcnt lgkmcnt(0)
	ds_bpermute_b32 v3, v1, v0
	s_waitcnt lgkmcnt(0)
	v_add_f32_e32 v0, v0, v3
	ds_bpermute_b32 v3, v6, v0
	s_waitcnt lgkmcnt(0)
	v_add_f32_e32 v0, v0, v3
	;; [unrolled: 3-line block ×5, first 2 shown]
	s_or_b64 exec, exec, s[10:11]
	s_and_saveexec_b64 s[10:11], s[6:7]
	s_cbranch_execz .LBB31_131
.LBB31_127:
	s_or_b32 s12, s23, 2
	s_cmp_ge_u32 s12, s22
	s_cbranch_scc1 .LBB31_131
; %bb.128:
	s_add_i32 s12, s14, s12
	s_mov_b32 s13, 0
	s_lshl_b64 s[12:13], s[12:13], 2
	s_add_u32 s12, s16, s12
	s_addc_u32 s13, s17, s13
	s_andn2_b64 vcc, exec, s[8:9]
	s_cbranch_vccnz .LBB31_130
; %bb.129:
	v_mov_b32_e32 v3, 0
	global_load_dword v3, v3, s[12:13]
	s_waitcnt vmcnt(0) lgkmcnt(0)
	v_add_f32_e32 v0, v0, v3
.LBB31_130:
	v_mov_b32_e32 v3, 0
	s_waitcnt lgkmcnt(0)
	global_store_dword v3, v0, s[12:13]
.LBB31_131:
	s_or_b64 exec, exec, s[10:11]
	s_waitcnt lgkmcnt(0)
	ds_bpermute_b32 v0, v1, v5
	s_waitcnt lgkmcnt(0)
	s_barrier
	v_add_f32_e32 v0, v5, v0
	ds_bpermute_b32 v3, v6, v0
	s_waitcnt lgkmcnt(0)
	v_add_f32_e32 v0, v0, v3
	ds_bpermute_b32 v3, v2, v0
	s_waitcnt lgkmcnt(0)
	;; [unrolled: 3-line block ×3, first 2 shown]
	v_add_f32_e32 v0, v0, v3
	ds_bpermute_b32 v3, v8, v0
	s_and_saveexec_b64 s[10:11], s[2:3]
	s_cbranch_execz .LBB31_133
; %bb.132:
	s_waitcnt lgkmcnt(0)
	v_add_f32_e32 v0, v0, v3
	ds_write_b32 v9, v0
.LBB31_133:
	s_or_b64 exec, exec, s[10:11]
	v_mov_b32_e32 v0, 0
	s_waitcnt lgkmcnt(0)
	s_barrier
	s_and_saveexec_b64 s[2:3], s[0:1]
	s_cbranch_execnz .LBB31_136
; %bb.134:
	s_or_b64 exec, exec, s[2:3]
	s_and_saveexec_b64 s[0:1], s[4:5]
	s_cbranch_execnz .LBB31_137
.LBB31_135:
	s_or_b64 exec, exec, s[0:1]
	s_and_saveexec_b64 s[0:1], s[6:7]
	s_cbranch_execnz .LBB31_138
	s_branch .LBB31_142
.LBB31_136:
	ds_read_b32 v0, v10
	s_or_b64 exec, exec, s[2:3]
	s_and_saveexec_b64 s[0:1], s[4:5]
	s_cbranch_execz .LBB31_135
.LBB31_137:
	s_waitcnt lgkmcnt(0)
	ds_bpermute_b32 v1, v1, v0
	s_waitcnt lgkmcnt(0)
	v_add_f32_e32 v0, v0, v1
	ds_bpermute_b32 v1, v6, v0
	s_waitcnt lgkmcnt(0)
	v_add_f32_e32 v0, v0, v1
	;; [unrolled: 3-line block ×5, first 2 shown]
	s_or_b64 exec, exec, s[0:1]
	s_and_saveexec_b64 s[0:1], s[6:7]
	s_cbranch_execz .LBB31_142
.LBB31_138:
	s_or_b32 s2, s23, 3
	s_cmp_ge_u32 s2, s22
	s_cbranch_scc1 .LBB31_142
; %bb.139:
	s_add_i32 s2, s14, s2
	s_mov_b32 s3, 0
	s_lshl_b64 s[2:3], s[2:3], 2
	s_add_u32 s2, s16, s2
	s_addc_u32 s3, s17, s3
	s_andn2_b64 vcc, exec, s[8:9]
	s_cbranch_vccnz .LBB31_141
; %bb.140:
	v_mov_b32_e32 v1, 0
	global_load_dword v1, v1, s[2:3]
	s_waitcnt vmcnt(0) lgkmcnt(0)
	v_add_f32_e32 v0, v0, v1
.LBB31_141:
	v_mov_b32_e32 v1, 0
	s_waitcnt lgkmcnt(0)
	global_store_dword v1, v0, s[2:3]
.LBB31_142:
	s_or_b64 exec, exec, s[0:1]
	s_waitcnt lgkmcnt(0)
	s_barrier
.LBB31_143:
	s_endpgm
	.section	.rodata,"a",@progbits
	.p2align	6, 0x0
	.amdhsa_kernel dmmv_q4k_mr4
		.amdhsa_group_segment_fixed_size 128
		.amdhsa_private_segment_fixed_size 0
		.amdhsa_kernarg_size 304
		.amdhsa_user_sgpr_count 6
		.amdhsa_user_sgpr_private_segment_buffer 1
		.amdhsa_user_sgpr_dispatch_ptr 0
		.amdhsa_user_sgpr_queue_ptr 0
		.amdhsa_user_sgpr_kernarg_segment_ptr 1
		.amdhsa_user_sgpr_dispatch_id 0
		.amdhsa_user_sgpr_flat_scratch_init 0
		.amdhsa_user_sgpr_kernarg_preload_length 0
		.amdhsa_user_sgpr_kernarg_preload_offset 0
		.amdhsa_user_sgpr_private_segment_size 0
		.amdhsa_uses_dynamic_stack 0
		.amdhsa_system_sgpr_private_segment_wavefront_offset 0
		.amdhsa_system_sgpr_workgroup_id_x 1
		.amdhsa_system_sgpr_workgroup_id_y 0
		.amdhsa_system_sgpr_workgroup_id_z 0
		.amdhsa_system_sgpr_workgroup_info 0
		.amdhsa_system_vgpr_workitem_id 0
		.amdhsa_next_free_vgpr 60
		.amdhsa_next_free_sgpr 38
		.amdhsa_accum_offset 60
		.amdhsa_reserve_vcc 1
		.amdhsa_reserve_flat_scratch 0
		.amdhsa_float_round_mode_32 0
		.amdhsa_float_round_mode_16_64 0
		.amdhsa_float_denorm_mode_32 3
		.amdhsa_float_denorm_mode_16_64 3
		.amdhsa_dx10_clamp 1
		.amdhsa_ieee_mode 1
		.amdhsa_fp16_overflow 0
		.amdhsa_tg_split 0
		.amdhsa_exception_fp_ieee_invalid_op 0
		.amdhsa_exception_fp_denorm_src 0
		.amdhsa_exception_fp_ieee_div_zero 0
		.amdhsa_exception_fp_ieee_overflow 0
		.amdhsa_exception_fp_ieee_underflow 0
		.amdhsa_exception_fp_ieee_inexact 0
		.amdhsa_exception_int_div_zero 0
	.end_amdhsa_kernel
	.text
.Lfunc_end31:
	.size	dmmv_q4k_mr4, .Lfunc_end31-dmmv_q4k_mr4
                                        ; -- End function
	.section	.AMDGPU.csdata,"",@progbits
; Kernel info:
; codeLenInByte = 6616
; NumSgprs: 42
; NumVgprs: 60
; NumAgprs: 0
; TotalNumVgprs: 60
; ScratchSize: 0
; MemoryBound: 0
; FloatMode: 240
; IeeeMode: 1
; LDSByteSize: 128 bytes/workgroup (compile time only)
; SGPRBlocks: 5
; VGPRBlocks: 7
; NumSGPRsForWavesPerEU: 42
; NumVGPRsForWavesPerEU: 60
; AccumOffset: 60
; Occupancy: 8
; WaveLimiterHint : 1
; COMPUTE_PGM_RSRC2:SCRATCH_EN: 0
; COMPUTE_PGM_RSRC2:USER_SGPR: 6
; COMPUTE_PGM_RSRC2:TRAP_HANDLER: 0
; COMPUTE_PGM_RSRC2:TGID_X_EN: 1
; COMPUTE_PGM_RSRC2:TGID_Y_EN: 0
; COMPUTE_PGM_RSRC2:TGID_Z_EN: 0
; COMPUTE_PGM_RSRC2:TIDIG_COMP_CNT: 0
; COMPUTE_PGM_RSRC3_GFX90A:ACCUM_OFFSET: 14
; COMPUTE_PGM_RSRC3_GFX90A:TG_SPLIT: 0
	.text
	.protected	dmmv_q5k_mr2            ; -- Begin function dmmv_q5k_mr2
	.globl	dmmv_q5k_mr2
	.p2align	8
	.type	dmmv_q5k_mr2,@function
dmmv_q5k_mr2:                           ; @dmmv_q5k_mr2
; %bb.0:
	s_load_dword s18, s[4:5], 0x18
	s_add_u32 s16, s4, 24
	s_addc_u32 s17, s5, 0
	s_lshl_b32 s19, s6, 1
	s_waitcnt lgkmcnt(0)
	s_cmp_ge_u32 s19, s18
	s_cbranch_scc1 .LBB32_73
; %bb.1:
	s_load_dword s7, s[4:5], 0x3c
	s_load_dwordx4 s[8:11], s[4:5], 0x1c
	s_load_dwordx2 s[12:13], s[4:5], 0x10
	s_load_dwordx4 s[0:3], s[4:5], 0x0
	s_load_dwordx2 s[14:15], s[16:17], 0x10
	v_lshrrev_b32_e32 v29, 4, v0
	s_waitcnt lgkmcnt(0)
	s_lshr_b32 s21, s8, 8
	s_and_b32 s20, s7, 0xffff
	v_cmp_gt_u32_e32 vcc, s21, v29
	v_mov_b32_e32 v27, 0
	v_mov_b32_e32 v50, 0
	s_and_saveexec_b64 s[4:5], vcc
	s_cbranch_execz .LBB32_51
; %bb.2:
	s_and_b32 s7, s10, -4
	s_add_u32 s22, s2, s7
	v_lshlrev_b32_e32 v3, 3, v0
	s_addc_u32 s8, s3, 0
	v_and_b32_e32 v5, 4, v0
	s_lshr_b32 s23, s20, 4
	s_lshr_b32 s7, s9, 2
	s_or_b32 s2, s19, 1
	v_bfe_u32 v2, v0, 3, 1
	s_cmp_lt_u32 s2, s18
	v_and_or_b32 v3, v3, 24, v5
	v_lshlrev_b32_e32 v4, 6, v2
	v_lshlrev_b32_e32 v35, 1, v2
	;; [unrolled: 1-line block ×3, first 2 shown]
	s_cselect_b64 s[2:3], -1, 0
	v_lshl_or_b32 v2, v2, 5, v3
	s_add_i32 s9, s19, 1
	v_lshrrev_b32_e32 v2, 2, v2
	s_mul_i32 s9, s21, s9
	s_mul_i32 s6, s6, s21
	v_add_u32_e32 v2, s7, v2
	s_mul_i32 s9, s9, 44
	v_lshrrev_b32_e32 v5, 2, v3
	s_mulk_i32 s6, 0x58
	v_add_u32_e32 v52, s9, v2
	v_add_u32_e32 v5, s7, v5
	;; [unrolled: 1-line block ×3, first 2 shown]
	v_lshlrev_b32_e32 v2, 8, v29
	v_or_b32_e32 v37, 1, v35
	v_or_b32_e32 v46, 5, v35
	v_or_b32_e32 v47, 4, v35
	v_or_b32_e32 v48, 24, v35
	v_or_b32_e32 v1, 8, v35
	v_or_b32_e32 v20, 9, v35
	v_or_b32_e32 v19, 16, v35
	v_or_b32_e32 v22, 17, v35
	v_or_b32_e32 v49, 25, v35
	v_or_b32_e32 v21, 13, v35
	v_or_b32_e32 v24, 12, v35
	v_or_b32_e32 v23, 21, v35
	v_or_b32_e32 v26, 20, v35
	v_or_b32_e32 v25, 29, v35
	v_or_b32_e32 v28, 28, v35
	v_mul_u32_u24_e32 v51, 44, v29
	s_mul_i32 s24, s23, 44
	v_add3_u32 v53, v5, s9, 4
	s_add_i32 s25, s7, s9
	v_add3_u32 v55, v5, s6, 4
	s_add_i32 s26, s7, s6
	v_or3_b32 v56, v2, v4, v3
	s_lshl_b32 s27, s23, 8
	s_mov_b64 s[6:7], 0
	v_mov_b32_e32 v31, 0
	v_mov_b32_e32 v57, s8
	;; [unrolled: 1-line block ×3, first 2 shown]
	s_mov_b32 s28, 0x7f800000
	s_movk_i32 s29, 0x3ff
	s_mov_b32 s30, 0x7fc000
	v_mov_b32_e32 v33, 0
	v_mov_b32_e32 v59, 13
	;; [unrolled: 1-line block ×5, first 2 shown]
	s_branch .LBB32_7
.LBB32_3:                               ;   in Loop: Header=BB32_7 Depth=1
	s_andn2_saveexec_b64 s[16:17], s[16:17]
	s_or_b64 exec, exec, s[16:17]
.LBB32_4:                               ;   in Loop: Header=BB32_7 Depth=1
	s_or_b64 exec, exec, s[10:11]
.LBB32_5:                               ;   in Loop: Header=BB32_7 Depth=1
	s_or_b64 exec, exec, s[8:9]
	v_add_u32_e32 v30, 1, v32
	v_lshlrev_b64 v[42:43], 2, v[30:31]
	v_mov_b32_e32 v67, s1
	v_add_co_u32_e32 v42, vcc, s0, v42
	v_add_u32_e32 v30, 2, v32
	v_addc_co_u32_e32 v43, vcc, v67, v43, vcc
	v_lshlrev_b64 v[44:45], 2, v[30:31]
	v_add_co_u32_e32 v44, vcc, s0, v44
	v_add_u32_e32 v30, 3, v32
	v_addc_co_u32_e32 v45, vcc, v67, v45, vcc
	global_load_dword v68, v[42:43], off
	global_load_dword v69, v[44:45], off
	v_lshlrev_b64 v[42:43], 2, v[30:31]
	v_add_u32_e32 v30, v51, v53
	v_lshlrev_b64 v[44:45], 2, v[30:31]
	v_add_co_u32_e32 v44, vcc, s0, v44
	v_add_u32_e32 v17, v51, v52
	v_addc_co_u32_e32 v45, vcc, v67, v45, vcc
	v_add_u32_e32 v30, 12, v17
	global_load_dword v13, v[44:45], off
	v_lshlrev_b64 v[44:45], 2, v[30:31]
	v_add_co_u32_e32 v44, vcc, s0, v44
	v_addc_co_u32_e32 v45, vcc, v67, v45, vcc
	global_load_dword v32, v[44:45], off
	v_add_u32_e32 v30, 28, v17
	v_lshlrev_b64 v[44:45], 2, v[30:31]
	v_add_co_u32_e32 v44, vcc, s0, v44
	v_addc_co_u32_e32 v45, vcc, v67, v45, vcc
	global_load_dword v17, v[44:45], off
	v_add_co_u32_e32 v42, vcc, s0, v42
	v_addc_co_u32_e32 v43, vcc, v67, v43, vcc
	global_load_dword v30, v[42:43], off
	s_waitcnt vmcnt(5)
	v_lshrrev_b32_e32 v67, v18, v68
	v_bfe_u32 v42, v68, v18, 6
	s_waitcnt vmcnt(4)
	v_lshrrev_b32_e32 v76, v18, v69
	v_bfe_u32 v45, v69, v18, 6
	v_bfe_u32 v44, v67, 8, 6
	v_cvt_f32_ubyte0_e32 v43, v42
	v_cvt_f32_ubyte0_e32 v42, v44
	v_bfe_u32 v44, v76, 8, 6
	v_cvt_f32_ubyte0_e32 v45, v45
	v_cvt_f32_ubyte0_e32 v44, v44
	s_waitcnt vmcnt(3)
	v_lshrrev_b32_e32 v68, v35, v13
	v_lshrrev_b32_e32 v71, v1, v13
	;; [unrolled: 1-line block ×3, first 2 shown]
	v_lshlrev_b32_e32 v68, 4, v68
	v_lshlrev_b32_e32 v71, 4, v71
	v_lshrrev_b32_e32 v69, v37, v13
	s_waitcnt vmcnt(2)
	v_and_b32_e32 v75, 15, v32
	v_lshrrev_b32_e32 v70, v20, v13
	v_and_or_b32 v68, v68, 16, v75
	v_lshrrev_b32_e32 v75, 8, v32
	v_lshlrev_b32_e32 v74, 4, v74
	v_and_b32_e32 v71, 16, v71
	v_lshrrev_b32_e32 v72, v22, v13
	v_lshrrev_b32_e32 v73, v19, v13
	v_lshlrev_b32_e32 v69, 4, v69
	v_lshlrev_b32_e32 v70, 4, v70
	v_and_or_b32 v71, v75, 15, v71
	v_and_b32_e32 v74, 16, v74
	v_lshrrev_b32_e32 v75, 24, v32
	v_lshrrev_b32_e32 v77, 4, v32
	;; [unrolled: 1-line block ×3, first 2 shown]
	v_lshlrev_b32_e32 v72, 4, v72
	v_and_b32_e32 v69, 16, v69
	v_lshlrev_b32_e32 v73, 4, v73
	v_and_b32_e32 v70, 16, v70
	v_and_or_b32 v75, v75, 15, v74
	v_lshrrev_b32_e32 v74, v49, v13
	v_and_or_b32 v77, v77, 15, v69
	v_lshrrev_b32_e32 v69, 20, v32
	;; [unrolled: 2-line block ×3, first 2 shown]
	v_and_b32_e32 v72, 16, v72
	v_and_b32_e32 v73, 16, v73
	v_alignbit_b32 v32, v74, v32, 28
	v_and_or_b32 v72, v69, 15, v72
	v_and_or_b32 v73, v78, 15, v73
	v_cvt_f32_ubyte0_e32 v71, v71
	v_cvt_f32_ubyte0_e32 v70, v70
	v_and_b32_e32 v32, 31, v32
	v_pk_mul_f32 v[42:43], v[12:13], v[42:43] op_sel_hi:[0,1]
	s_waitcnt vmcnt(1)
	v_pk_mul_f32 v[44:45], v[16:17], v[44:45] op_sel_hi:[0,1]
	v_cvt_f32_ubyte0_e32 v69, v68
	v_cvt_f32_ubyte0_e32 v68, v77
	;; [unrolled: 1-line block ×6, first 2 shown]
	v_pk_fma_f32 v[70:71], v[42:43], v[70:71], v[44:45] neg_lo:[0,0,1] neg_hi:[0,0,1]
	v_pk_fma_f32 v[68:69], v[42:43], v[68:69], v[44:45] neg_lo:[0,0,1] neg_hi:[0,0,1]
	;; [unrolled: 1-line block ×4, first 2 shown]
	v_pk_mul_f32 v[44:45], v[6:7], v[70:71]
	v_pk_fma_f32 v[44:45], v[40:41], v[68:69], v[44:45]
	v_pk_fma_f32 v[44:45], v[38:39], v[72:73], v[44:45]
	;; [unrolled: 1-line block ×3, first 2 shown]
	v_add_f32_e32 v32, 0, v43
	v_add_f32_e32 v32, v42, v32
	v_lshrrev_b32_e32 v42, v47, v13
	v_lshlrev_b32_e32 v68, 4, v42
	v_lshrrev_b32_e32 v42, v46, v13
	s_waitcnt vmcnt(0)
	v_lshrrev_b32_e32 v30, v18, v30
	v_lshrrev_b32_e32 v43, 2, v67
	v_lshlrev_b32_e32 v69, 4, v42
	v_lshrrev_b32_e32 v42, 10, v67
	v_bfe_u32 v44, v30, 8, 4
	v_and_b32_e32 v43, 48, v43
	v_and_or_b32 v45, v30, 15, v43
	v_and_or_b32 v42, v42, 48, v44
	v_cvt_f32_ubyte0_e32 v43, v42
	v_cvt_f32_ubyte0_e32 v42, v45
	v_pk_mul_f32 v[42:43], v[12:13], v[42:43] op_sel_hi:[0,1]
	v_lshrrev_b32_e32 v12, 2, v76
	v_bfe_u32 v44, v30, 12, 4
	v_and_b32_e32 v12, 48, v12
	v_lshrrev_b32_e32 v45, 10, v76
	v_lshrrev_b32_e32 v30, 4, v30
	v_and_or_b32 v12, v30, 15, v12
	v_and_or_b32 v30, v45, 48, v44
	v_cvt_f32_ubyte0_e32 v45, v30
	v_cvt_f32_ubyte0_e32 v44, v12
	v_pk_mul_f32 v[44:45], v[16:17], v[44:45] op_sel_hi:[0,1]
	v_bfe_u32 v12, v17, 4, 4
	v_and_b32_e32 v16, 16, v68
	v_lshrrev_b32_e32 v30, v21, v13
	v_lshrrev_b32_e32 v67, v24, v13
	v_and_or_b32 v16, v17, 15, v16
	v_and_or_b32 v12, v69, 16, v12
	v_lshlrev_b32_e32 v67, 4, v67
	v_lshlrev_b32_e32 v30, 4, v30
	v_cvt_f32_ubyte0_e32 v69, v12
	v_cvt_f32_ubyte0_e32 v68, v16
	v_lshrrev_b32_e32 v12, 12, v17
	v_lshrrev_b32_e32 v16, 8, v17
	v_and_b32_e32 v30, 16, v30
	v_and_b32_e32 v67, 16, v67
	v_and_or_b32 v16, v16, 15, v67
	v_and_or_b32 v12, v12, 15, v30
	v_lshrrev_b32_e32 v30, v23, v13
	v_cvt_f32_ubyte0_e32 v71, v12
	v_cvt_f32_ubyte0_e32 v70, v16
	v_lshlrev_b32_e32 v30, 4, v30
	v_pk_fma_f32 v[70:71], v[42:43], v[70:71], v[44:45] neg_lo:[0,0,1] neg_hi:[0,0,1]
	v_lshrrev_b32_e32 v12, 20, v17
	v_and_b32_e32 v30, 16, v30
	v_pk_fma_f32 v[68:69], v[42:43], v[68:69], v[44:45] neg_lo:[0,0,1] neg_hi:[0,0,1]
	v_pk_mul_f32 v[70:71], v[2:3], v[70:71]
	v_lshrrev_b32_e32 v67, v26, v13
	v_and_or_b32 v12, v12, 15, v30
	v_pk_fma_f32 v[68:69], v[14:15], v[68:69], v[70:71]
	v_lshlrev_b32_e32 v67, 4, v67
	v_cvt_f32_ubyte0_e32 v71, v12
	v_lshrrev_b32_e32 v12, v25, v13
	v_lshrrev_b32_e32 v13, v28, v13
	;; [unrolled: 1-line block ×3, first 2 shown]
	v_and_b32_e32 v67, 16, v67
	v_lshlrev_b32_e32 v13, 4, v13
	v_lshrrev_b32_e32 v72, 24, v17
	v_and_or_b32 v16, v16, 15, v67
	v_and_b32_e32 v13, 16, v13
	v_alignbit_b32 v12, v12, v17, 28
	v_cvt_f32_ubyte0_e32 v70, v16
	v_and_or_b32 v16, v72, 15, v13
	v_and_b32_e32 v12, 31, v12
	v_pk_fma_f32 v[70:71], v[42:43], v[70:71], v[44:45] neg_lo:[0,0,1] neg_hi:[0,0,1]
	v_cvt_f32_ubyte0_e32 v13, v12
	v_cvt_f32_ubyte0_e32 v12, v16
	v_pk_fma_f32 v[68:69], v[10:11], v[70:71], v[68:69]
	v_pk_fma_f32 v[12:13], v[42:43], v[12:13], v[44:45] neg_lo:[0,0,1] neg_hi:[0,0,1]
	v_pk_fma_f32 v[12:13], v[4:5], v[12:13], v[68:69]
	v_add_f32_e32 v12, v12, v32
	v_add_f32_e32 v12, v13, v12
	v_add_f32_e32 v27, v27, v12
.LBB32_6:                               ;   in Loop: Header=BB32_7 Depth=1
	s_waitcnt vmcnt(2)
	v_lshrrev_b32_e32 v12, v35, v61
	v_lshlrev_b32_e32 v30, 4, v12
	v_lshrrev_b32_e32 v12, v48, v61
	v_lshlrev_b32_e32 v67, 4, v12
	;; [unrolled: 2-line block ×3, first 2 shown]
	v_lshrrev_b32_e32 v70, v18, v65
	v_bfe_u32 v17, v65, v18, 6
	s_waitcnt vmcnt(1)
	v_and_b32_e32 v44, 15, v64
	v_lshrrev_b32_e32 v45, v1, v61
	v_lshrrev_b32_e32 v65, v20, v61
	v_lshrrev_b32_e32 v42, 4, v64
	v_lshrrev_b32_e32 v69, v18, v66
	v_and_b32_e32 v43, 16, v43
	v_and_or_b32 v30, v30, 16, v44
	v_lshlrev_b32_e32 v65, 4, v65
	v_lshlrev_b32_e32 v45, 4, v45
	v_bfe_u32 v12, v69, 8, 6
	v_bfe_u32 v13, v66, v18, 6
	;; [unrolled: 1-line block ×3, first 2 shown]
	v_and_or_b32 v42, v42, 15, v43
	v_cvt_f32_ubyte0_e32 v43, v30
	v_lshrrev_b32_e32 v30, 8, v64
	v_lshrrev_b32_e32 v44, 12, v64
	v_and_b32_e32 v45, 16, v45
	v_and_b32_e32 v65, 16, v65
	v_cvt_f32_ubyte0_e32 v13, v13
	v_cvt_f32_ubyte0_e32 v12, v12
	;; [unrolled: 1-line block ×4, first 2 shown]
	v_and_or_b32 v44, v44, 15, v65
	v_and_or_b32 v30, v30, 15, v45
	v_pk_mul_f32 v[12:13], v[34:35], v[12:13] op_sel_hi:[0,1]
	v_pk_mul_f32 v[16:17], v[36:37], v[16:17] op_sel_hi:[0,1]
	v_cvt_f32_ubyte0_e32 v45, v30
	v_cvt_f32_ubyte0_e32 v44, v44
	;; [unrolled: 1-line block ×3, first 2 shown]
	v_pk_fma_f32 v[44:45], v[12:13], v[44:45], v[16:17] neg_lo:[0,0,1] neg_hi:[0,0,1]
	v_pk_fma_f32 v[42:43], v[12:13], v[42:43], v[16:17] neg_lo:[0,0,1] neg_hi:[0,0,1]
	v_pk_mul_f32 v[6:7], v[6:7], v[44:45]
	v_pk_fma_f32 v[6:7], v[40:41], v[42:43], v[6:7]
	v_lshrrev_b32_e32 v41, v19, v61
	v_lshrrev_b32_e32 v42, v22, v61
	v_lshlrev_b32_e32 v41, 4, v41
	v_lshrrev_b32_e32 v30, 16, v64
	v_lshlrev_b32_e32 v42, 4, v42
	v_and_b32_e32 v41, 16, v41
	v_lshrrev_b32_e32 v40, 20, v64
	v_and_b32_e32 v42, 16, v42
	v_and_or_b32 v30, v30, 15, v41
	v_lshrrev_b32_e32 v32, 24, v64
	v_lshrrev_b32_e32 v68, v49, v61
	v_and_or_b32 v40, v40, 15, v42
	v_cvt_f32_ubyte0_e32 v41, v30
	v_and_b32_e32 v30, 16, v67
	v_cvt_f32_ubyte0_e32 v40, v40
	v_and_or_b32 v30, v32, 15, v30
	v_alignbit_b32 v32, v68, v64, 28
	v_pk_fma_f32 v[40:41], v[12:13], v[40:41], v[16:17] neg_lo:[0,0,1] neg_hi:[0,0,1]
	v_and_b32_e32 v32, 31, v32
	v_pk_fma_f32 v[6:7], v[38:39], v[40:41], v[6:7]
	v_cvt_f32_ubyte0_e32 v38, v32
	v_cvt_f32_ubyte0_e32 v39, v30
	v_pk_fma_f32 v[12:13], v[12:13], v[38:39], v[16:17] neg_lo:[0,0,1] neg_hi:[0,0,1]
	v_pk_fma_f32 v[6:7], v[8:9], v[12:13], v[6:7]
	v_add_f32_e32 v7, 0, v7
	v_add_f32_e32 v30, v6, v7
	v_lshrrev_b32_e32 v6, v47, v61
	v_lshlrev_b32_e32 v12, 4, v6
	v_lshrrev_b32_e32 v6, v46, v61
	v_lshrrev_b32_e32 v8, v18, v63
	;; [unrolled: 1-line block ×3, first 2 shown]
	v_lshlrev_b32_e32 v13, 4, v6
	v_lshrrev_b32_e32 v6, 10, v69
	v_bfe_u32 v9, v8, 8, 4
	v_and_b32_e32 v7, 48, v7
	v_and_or_b32 v16, v8, 15, v7
	v_and_or_b32 v6, v6, 48, v9
	v_lshrrev_b32_e32 v9, 2, v70
	v_cvt_f32_ubyte0_e32 v7, v6
	v_cvt_f32_ubyte0_e32 v6, v16
	v_bfe_u32 v16, v8, 12, 4
	v_and_b32_e32 v9, 48, v9
	v_lshrrev_b32_e32 v17, 10, v70
	v_lshrrev_b32_e32 v8, 4, v8
	v_and_or_b32 v8, v8, 15, v9
	v_and_or_b32 v9, v17, 48, v16
	v_cvt_f32_ubyte0_e32 v9, v9
	v_cvt_f32_ubyte0_e32 v8, v8
	v_pk_mul_f32 v[6:7], v[34:35], v[6:7] op_sel_hi:[0,1]
	v_pk_mul_f32 v[8:9], v[36:37], v[8:9] op_sel_hi:[0,1]
	v_lshrrev_b32_e32 v34, v21, v61
	v_lshrrev_b32_e32 v36, v24, v61
	s_waitcnt vmcnt(0)
	v_bfe_u32 v16, v62, 4, 4
	v_lshlrev_b32_e32 v36, 4, v36
	v_lshlrev_b32_e32 v34, 4, v34
	v_and_or_b32 v13, v13, 16, v16
	v_lshrrev_b32_e32 v16, 12, v62
	v_lshrrev_b32_e32 v17, 8, v62
	v_and_b32_e32 v34, 16, v34
	v_and_b32_e32 v36, 16, v36
	;; [unrolled: 1-line block ×3, first 2 shown]
	v_and_or_b32 v36, v17, 15, v36
	v_and_or_b32 v16, v16, 15, v34
	;; [unrolled: 1-line block ×3, first 2 shown]
	v_cvt_f32_ubyte0_e32 v17, v16
	v_cvt_f32_ubyte0_e32 v16, v36
	;; [unrolled: 1-line block ×4, first 2 shown]
	v_pk_fma_f32 v[16:17], v[6:7], v[16:17], v[8:9] neg_lo:[0,0,1] neg_hi:[0,0,1]
	v_pk_fma_f32 v[12:13], v[6:7], v[12:13], v[8:9] neg_lo:[0,0,1] neg_hi:[0,0,1]
	v_pk_mul_f32 v[2:3], v[2:3], v[16:17]
	v_pk_fma_f32 v[2:3], v[14:15], v[12:13], v[2:3]
	v_lshrrev_b32_e32 v14, v23, v61
	v_lshrrev_b32_e32 v15, v26, v61
	v_lshlrev_b32_e32 v15, 4, v15
	v_lshlrev_b32_e32 v14, 4, v14
	v_lshrrev_b32_e32 v12, 20, v62
	v_lshrrev_b32_e32 v13, 16, v62
	v_and_b32_e32 v14, 16, v14
	v_and_b32_e32 v15, 16, v15
	v_and_or_b32 v15, v13, 15, v15
	v_and_or_b32 v12, v12, 15, v14
	v_cvt_f32_ubyte0_e32 v13, v12
	v_cvt_f32_ubyte0_e32 v12, v15
	v_pk_fma_f32 v[12:13], v[6:7], v[12:13], v[8:9] neg_lo:[0,0,1] neg_hi:[0,0,1]
	v_pk_fma_f32 v[2:3], v[10:11], v[12:13], v[2:3]
	v_lshrrev_b32_e32 v11, v28, v61
	v_lshrrev_b32_e32 v10, v25, v61
	v_lshlrev_b32_e32 v11, 4, v11
	v_lshrrev_b32_e32 v32, 24, v62
	v_and_b32_e32 v11, 16, v11
	v_alignbit_b32 v10, v10, v62, 28
	v_and_or_b32 v12, v32, 15, v11
	v_and_b32_e32 v10, 31, v10
	v_cvt_f32_ubyte0_e32 v11, v10
	v_cvt_f32_ubyte0_e32 v10, v12
	v_pk_fma_f32 v[6:7], v[6:7], v[10:11], v[8:9] neg_lo:[0,0,1] neg_hi:[0,0,1]
	v_pk_fma_f32 v[2:3], v[4:5], v[6:7], v[2:3]
	v_add_f32_e32 v2, v2, v30
	v_add_u32_e32 v29, s23, v29
	v_add_f32_e32 v2, v3, v2
	s_add_i32 s25, s25, s24
	s_add_i32 s26, s26, s24
	v_cmp_le_u32_e32 vcc, s21, v29
	v_add_f32_e32 v50, v50, v2
	v_add_u32_e32 v52, s24, v52
	v_add_u32_e32 v53, s24, v53
	;; [unrolled: 1-line block ×4, first 2 shown]
	s_or_b64 s[6:7], vcc, s[6:7]
	v_add_u32_e32 v56, s27, v56
	s_andn2_b64 exec, exec, s[6:7]
	s_cbranch_execz .LBB32_50
.LBB32_7:                               ; =>This Inner Loop Header: Depth=1
	v_lshrrev_b32_e32 v30, 2, v56
	v_lshlrev_b64 v[2:3], 4, v[30:31]
	v_add_co_u32_e32 v40, vcc, s22, v2
	v_add_u32_e32 v38, s26, v51
	v_mov_b32_e32 v39, v31
	v_addc_co_u32_e32 v41, vcc, v57, v3, vcc
	v_lshlrev_b64 v[2:3], 2, v[38:39]
	v_add_co_u32_e32 v42, vcc, s0, v2
	v_addc_co_u32_e32 v43, vcc, v58, v3, vcc
	global_load_dword v30, v[42:43], off
	global_load_dwordx4 v[6:9], v[40:41], off
	global_load_dwordx4 v[14:17], v[40:41], off offset:128
	global_load_dwordx4 v[10:13], v[40:41], off offset:512
	;; [unrolled: 1-line block ×3, first 2 shown]
                                        ; implicit-def: $vgpr34
	s_waitcnt vmcnt(4)
	v_bfe_u32 v36, v30, 10, 5
	v_bfe_u32 v32, v30, 15, 1
	v_cmp_lt_i32_e32 vcc, 30, v36
	s_and_saveexec_b64 s[8:9], vcc
	s_xor_b64 s[8:9], exec, s[8:9]
; %bb.8:                                ;   in Loop: Header=BB32_7 Depth=1
	v_lshlrev_b32_e32 v32, 31, v32
	v_lshlrev_b32_sdwa v34, v59, v30 dst_sel:DWORD dst_unused:UNUSED_PAD src0_sel:DWORD src1_sel:WORD_0
	v_or3_b32 v34, v32, v34, s28
                                        ; implicit-def: $vgpr36
                                        ; implicit-def: $vgpr32
; %bb.9:                                ;   in Loop: Header=BB32_7 Depth=1
	s_andn2_saveexec_b64 s[8:9], s[8:9]
	s_cbranch_execz .LBB32_19
; %bb.10:                               ;   in Loop: Header=BB32_7 Depth=1
	v_and_b32_e32 v39, 0x3ff, v30
	v_cmp_ne_u32_e32 vcc, 0, v36
                                        ; implicit-def: $vgpr34
	s_and_saveexec_b64 s[10:11], vcc
	s_xor_b64 s[10:11], exec, s[10:11]
; %bb.11:                               ;   in Loop: Header=BB32_7 Depth=1
	v_lshlrev_b32_e32 v32, 31, v32
	v_lshlrev_b32_e32 v34, 23, v36
	;; [unrolled: 1-line block ×3, first 2 shown]
	v_or3_b32 v32, v34, v32, v36
	v_add_u32_e32 v34, 0x38000000, v32
                                        ; implicit-def: $vgpr32
                                        ; implicit-def: $vgpr39
; %bb.12:                               ;   in Loop: Header=BB32_7 Depth=1
	s_andn2_saveexec_b64 s[10:11], s[10:11]
	s_cbranch_execz .LBB32_18
; %bb.13:                               ;   in Loop: Header=BB32_7 Depth=1
	v_cmp_ne_u32_e32 vcc, 0, v39
                                        ; implicit-def: $vgpr34
	s_and_saveexec_b64 s[16:17], vcc
	s_xor_b64 s[16:17], exec, s[16:17]
; %bb.14:                               ;   in Loop: Header=BB32_7 Depth=1
	v_ffbh_u32_e32 v34, v39
	v_xor_b32_e32 v36, 31, v34
	v_sub_u32_e32 v36, 9, v36
	v_lshlrev_b32_e32 v36, v36, v30
	v_lshl_or_b32 v32, v32, 31, v60
	v_lshlrev_b32_e32 v34, 23, v34
	v_lshlrev_b32_e32 v36, 14, v36
	v_sub_u32_e32 v32, v32, v34
	v_and_or_b32 v34, v36, s30, v32
                                        ; implicit-def: $vgpr32
; %bb.15:                               ;   in Loop: Header=BB32_7 Depth=1
	s_andn2_saveexec_b64 s[16:17], s[16:17]
; %bb.16:                               ;   in Loop: Header=BB32_7 Depth=1
	v_lshlrev_b32_e32 v34, 31, v32
; %bb.17:                               ;   in Loop: Header=BB32_7 Depth=1
	s_or_b64 exec, exec, s[16:17]
.LBB32_18:                              ;   in Loop: Header=BB32_7 Depth=1
	s_or_b64 exec, exec, s[10:11]
.LBB32_19:                              ;   in Loop: Header=BB32_7 Depth=1
	s_or_b64 exec, exec, s[8:9]
	v_bfe_u32 v32, v30, 26, 5
	v_cmp_lt_i32_e32 vcc, 30, v32
	v_and_b32_e32 v36, 0x80000000, v30
	s_and_saveexec_b64 s[8:9], vcc
	s_xor_b64 s[8:9], exec, s[8:9]
; %bb.20:                               ;   in Loop: Header=BB32_7 Depth=1
	v_and_b32_e32 v32, 0x80000000, v30
	v_lshlrev_b32_sdwa v30, v59, v30 dst_sel:DWORD dst_unused:UNUSED_PAD src0_sel:DWORD src1_sel:WORD_1
	v_or3_b32 v36, v30, v32, s28
                                        ; implicit-def: $vgpr30
                                        ; implicit-def: $vgpr32
; %bb.21:                               ;   in Loop: Header=BB32_7 Depth=1
	s_andn2_saveexec_b64 s[8:9], s[8:9]
	s_cbranch_execz .LBB32_29
; %bb.22:                               ;   in Loop: Header=BB32_7 Depth=1
	v_and_b32_sdwa v39, v30, s29 dst_sel:DWORD dst_unused:UNUSED_PAD src0_sel:WORD_1 src1_sel:DWORD
	v_cmp_ne_u32_e32 vcc, 0, v32
	s_and_saveexec_b64 s[10:11], vcc
	s_xor_b64 s[10:11], exec, s[10:11]
; %bb.23:                               ;   in Loop: Header=BB32_7 Depth=1
	v_and_b32_e32 v30, 0x80000000, v30
	v_lshlrev_b32_e32 v32, 23, v32
	v_lshlrev_b32_e32 v36, 13, v39
	v_or3_b32 v30, v32, v30, v36
	v_add_u32_e32 v36, 0x38000000, v30
                                        ; implicit-def: $vgpr39
                                        ; implicit-def: $vgpr30
; %bb.24:                               ;   in Loop: Header=BB32_7 Depth=1
	s_andn2_saveexec_b64 s[10:11], s[10:11]
	s_cbranch_execz .LBB32_28
; %bb.25:                               ;   in Loop: Header=BB32_7 Depth=1
	v_cmp_ne_u32_e32 vcc, 0, v39
	s_and_saveexec_b64 s[16:17], vcc
	s_xor_b64 s[16:17], exec, s[16:17]
; %bb.26:                               ;   in Loop: Header=BB32_7 Depth=1
	v_ffbh_u32_e32 v32, v39
	v_xor_b32_e32 v36, 31, v32
	v_sub_u32_e32 v36, 9, v36
	v_lshlrev_b32_sdwa v36, v36, v30 dst_sel:DWORD dst_unused:UNUSED_PAD src0_sel:DWORD src1_sel:WORD_1
	v_and_b32_e32 v30, 0x80000000, v30
	v_or_b32_e32 v30, 0x43000000, v30
	v_lshlrev_b32_e32 v32, 23, v32
	v_lshlrev_b32_e32 v36, 14, v36
	v_sub_u32_e32 v30, v30, v32
	v_and_or_b32 v36, v36, s30, v30
; %bb.27:                               ;   in Loop: Header=BB32_7 Depth=1
	s_andn2_saveexec_b64 s[16:17], s[16:17]
	s_or_b64 exec, exec, s[16:17]
.LBB32_28:                              ;   in Loop: Header=BB32_7 Depth=1
	s_or_b64 exec, exec, s[10:11]
.LBB32_29:                              ;   in Loop: Header=BB32_7 Depth=1
	s_or_b64 exec, exec, s[8:9]
	v_add_u32_e32 v30, 1, v38
	v_lshlrev_b64 v[40:41], 2, v[30:31]
	v_mov_b32_e32 v32, s1
	v_add_co_u32_e32 v40, vcc, s0, v40
	v_add_u32_e32 v30, 2, v38
	v_addc_co_u32_e32 v41, vcc, v32, v41, vcc
	v_lshlrev_b64 v[42:43], 2, v[30:31]
	v_add_co_u32_e32 v42, vcc, s0, v42
	v_add_u32_e32 v30, 3, v38
	v_addc_co_u32_e32 v43, vcc, v32, v43, vcc
	v_lshlrev_b64 v[38:39], 2, v[30:31]
	;; [unrolled: 4-line block ×3, first 2 shown]
	v_add_u32_e32 v61, v51, v54
	v_add_co_u32_e32 v44, vcc, s0, v44
	v_add_u32_e32 v30, 12, v61
	v_addc_co_u32_e32 v45, vcc, v32, v45, vcc
	v_lshlrev_b64 v[62:63], 2, v[30:31]
	v_add_co_u32_e32 v68, vcc, s0, v62
	v_add_u32_e32 v30, 28, v61
	v_addc_co_u32_e32 v69, vcc, v32, v63, vcc
	v_lshlrev_b64 v[62:63], 2, v[30:31]
	v_add_co_u32_e32 v70, vcc, s0, v62
	v_addc_co_u32_e32 v71, vcc, v32, v63, vcc
	global_load_dword v66, v[40:41], off
	global_load_dword v65, v[42:43], off
	;; [unrolled: 1-line block ×3, first 2 shown]
                                        ; kill: killed $vgpr38 killed $vgpr39
                                        ; kill: killed $vgpr42 killed $vgpr43
	global_load_dword v61, v[44:45], off
	global_load_dword v64, v[68:69], off
	;; [unrolled: 1-line block ×3, first 2 shown]
	s_waitcnt vmcnt(8)
	v_mov_b32_e32 v40, v14
	v_mov_b32_e32 v41, v6
	;; [unrolled: 1-line block ×6, first 2 shown]
	s_waitcnt vmcnt(7)
	v_mov_b32_e32 v14, v10
	s_waitcnt vmcnt(6)
	v_mov_b32_e32 v15, v2
	v_mov_b32_e32 v2, v11
	;; [unrolled: 1-line block ×4, first 2 shown]
	s_andn2_b64 vcc, exec, s[2:3]
	v_mov_b32_e32 v4, v13
	s_cbranch_vccnz .LBB32_6
; %bb.30:                               ;   in Loop: Header=BB32_7 Depth=1
	v_add_u32_e32 v32, s25, v51
	v_lshlrev_b64 v[12:13], 2, v[32:33]
	v_mov_b32_e32 v16, s1
	v_add_co_u32_e32 v12, vcc, s0, v12
	v_addc_co_u32_e32 v13, vcc, v16, v13, vcc
	global_load_dword v13, v[12:13], off
                                        ; implicit-def: $vgpr12
	s_waitcnt vmcnt(0)
	v_bfe_u32 v17, v13, 10, 5
	v_bfe_u32 v16, v13, 15, 1
	v_cmp_lt_i32_e32 vcc, 30, v17
	s_and_saveexec_b64 s[8:9], vcc
	s_xor_b64 s[8:9], exec, s[8:9]
; %bb.31:                               ;   in Loop: Header=BB32_7 Depth=1
	v_lshlrev_b32_e32 v12, 31, v16
	v_lshlrev_b32_sdwa v16, v59, v13 dst_sel:DWORD dst_unused:UNUSED_PAD src0_sel:DWORD src1_sel:WORD_0
	v_or3_b32 v12, v12, v16, s28
                                        ; implicit-def: $vgpr17
                                        ; implicit-def: $vgpr16
; %bb.32:                               ;   in Loop: Header=BB32_7 Depth=1
	s_andn2_saveexec_b64 s[8:9], s[8:9]
	s_cbranch_execz .LBB32_42
; %bb.33:                               ;   in Loop: Header=BB32_7 Depth=1
	v_and_b32_e32 v30, 0x3ff, v13
	v_cmp_ne_u32_e32 vcc, 0, v17
                                        ; implicit-def: $vgpr12
	s_and_saveexec_b64 s[10:11], vcc
	s_xor_b64 s[10:11], exec, s[10:11]
; %bb.34:                               ;   in Loop: Header=BB32_7 Depth=1
	v_lshlrev_b32_e32 v12, 31, v16
	v_lshlrev_b32_e32 v16, 23, v17
	;; [unrolled: 1-line block ×3, first 2 shown]
	v_or3_b32 v12, v16, v12, v17
	v_add_u32_e32 v12, 0x38000000, v12
                                        ; implicit-def: $vgpr16
                                        ; implicit-def: $vgpr30
; %bb.35:                               ;   in Loop: Header=BB32_7 Depth=1
	s_andn2_saveexec_b64 s[10:11], s[10:11]
	s_cbranch_execz .LBB32_41
; %bb.36:                               ;   in Loop: Header=BB32_7 Depth=1
	v_cmp_ne_u32_e32 vcc, 0, v30
                                        ; implicit-def: $vgpr12
	s_and_saveexec_b64 s[16:17], vcc
	s_xor_b64 s[16:17], exec, s[16:17]
; %bb.37:                               ;   in Loop: Header=BB32_7 Depth=1
	v_ffbh_u32_e32 v12, v30
	v_xor_b32_e32 v17, 31, v12
	v_sub_u32_e32 v17, 9, v17
	v_lshlrev_b32_e32 v17, v17, v13
	v_lshl_or_b32 v16, v16, 31, v60
	v_lshlrev_b32_e32 v12, 23, v12
	v_lshlrev_b32_e32 v17, 14, v17
	v_sub_u32_e32 v12, v16, v12
	v_and_or_b32 v12, v17, s30, v12
                                        ; implicit-def: $vgpr16
; %bb.38:                               ;   in Loop: Header=BB32_7 Depth=1
	s_andn2_saveexec_b64 s[16:17], s[16:17]
; %bb.39:                               ;   in Loop: Header=BB32_7 Depth=1
	v_lshlrev_b32_e32 v12, 31, v16
; %bb.40:                               ;   in Loop: Header=BB32_7 Depth=1
	s_or_b64 exec, exec, s[16:17]
.LBB32_41:                              ;   in Loop: Header=BB32_7 Depth=1
	s_or_b64 exec, exec, s[10:11]
.LBB32_42:                              ;   in Loop: Header=BB32_7 Depth=1
	s_or_b64 exec, exec, s[8:9]
	v_bfe_u32 v17, v13, 26, 5
	v_cmp_lt_i32_e32 vcc, 30, v17
	v_and_b32_e32 v16, 0x80000000, v13
	s_and_saveexec_b64 s[8:9], vcc
	s_xor_b64 s[8:9], exec, s[8:9]
; %bb.43:                               ;   in Loop: Header=BB32_7 Depth=1
	v_and_b32_e32 v16, 0x80000000, v13
	v_lshlrev_b32_sdwa v13, v59, v13 dst_sel:DWORD dst_unused:UNUSED_PAD src0_sel:DWORD src1_sel:WORD_1
	v_or3_b32 v16, v13, v16, s28
                                        ; implicit-def: $vgpr13
                                        ; implicit-def: $vgpr17
; %bb.44:                               ;   in Loop: Header=BB32_7 Depth=1
	s_andn2_saveexec_b64 s[8:9], s[8:9]
	s_cbranch_execz .LBB32_5
; %bb.45:                               ;   in Loop: Header=BB32_7 Depth=1
	v_and_b32_sdwa v30, v13, s29 dst_sel:DWORD dst_unused:UNUSED_PAD src0_sel:WORD_1 src1_sel:DWORD
	v_cmp_ne_u32_e32 vcc, 0, v17
	s_and_saveexec_b64 s[10:11], vcc
	s_xor_b64 s[10:11], exec, s[10:11]
; %bb.46:                               ;   in Loop: Header=BB32_7 Depth=1
	v_and_b32_e32 v13, 0x80000000, v13
	v_lshlrev_b32_e32 v16, 23, v17
	v_lshlrev_b32_e32 v17, 13, v30
	v_or3_b32 v13, v16, v13, v17
	v_add_u32_e32 v16, 0x38000000, v13
                                        ; implicit-def: $vgpr30
                                        ; implicit-def: $vgpr13
; %bb.47:                               ;   in Loop: Header=BB32_7 Depth=1
	s_andn2_saveexec_b64 s[10:11], s[10:11]
	s_cbranch_execz .LBB32_4
; %bb.48:                               ;   in Loop: Header=BB32_7 Depth=1
	v_cmp_ne_u32_e32 vcc, 0, v30
	s_and_saveexec_b64 s[16:17], vcc
	s_xor_b64 s[16:17], exec, s[16:17]
	s_cbranch_execz .LBB32_3
; %bb.49:                               ;   in Loop: Header=BB32_7 Depth=1
	v_ffbh_u32_e32 v16, v30
	v_xor_b32_e32 v17, 31, v16
	v_sub_u32_e32 v17, 9, v17
	v_lshlrev_b32_sdwa v17, v17, v13 dst_sel:DWORD dst_unused:UNUSED_PAD src0_sel:DWORD src1_sel:WORD_1
	v_and_b32_e32 v13, 0x80000000, v13
	v_or_b32_e32 v13, 0x43000000, v13
	v_lshlrev_b32_e32 v16, 23, v16
	v_lshlrev_b32_e32 v17, 14, v17
	v_sub_u32_e32 v13, v13, v16
	v_and_or_b32 v16, v17, s30, v13
	s_branch .LBB32_3
.LBB32_50:
	s_or_b64 exec, exec, s[6:7]
.LBB32_51:
	s_or_b64 exec, exec, s[4:5]
	v_mbcnt_lo_u32_b32 v1, -1, 0
	v_mbcnt_hi_u32_b32 v5, -1, v1
	v_and_b32_e32 v6, 63, v5
	v_cmp_gt_u32_e32 vcc, 48, v6
	v_cndmask_b32_e64 v1, 0, 1, vcc
	v_lshlrev_b32_e32 v1, 4, v1
	v_add_lshl_u32 v1, v1, v5, 2
	ds_bpermute_b32 v3, v1, v50
	v_cmp_gt_u32_e32 vcc, 56, v6
	v_cndmask_b32_e64 v2, 0, 1, vcc
	v_lshlrev_b32_e32 v2, 3, v2
	v_add_lshl_u32 v2, v2, v5, 2
	s_waitcnt lgkmcnt(0)
	v_add_f32_e32 v4, v50, v3
	ds_bpermute_b32 v7, v2, v4
	v_cmp_gt_u32_e32 vcc, 60, v6
	v_cndmask_b32_e64 v3, 0, 1, vcc
	v_lshlrev_b32_e32 v3, 2, v3
	v_add_lshl_u32 v3, v3, v5, 2
	s_waitcnt lgkmcnt(0)
	v_add_f32_e32 v7, v4, v7
	;; [unrolled: 7-line block ×3, first 2 shown]
	ds_bpermute_b32 v8, v4, v7
	v_cmp_ne_u32_e32 vcc, 63, v6
	v_addc_co_u32_e32 v5, vcc, 0, v5, vcc
	v_lshlrev_b32_e32 v5, 2, v5
	s_waitcnt lgkmcnt(0)
	v_add_f32_e32 v8, v7, v8
	ds_bpermute_b32 v9, v5, v8
	v_and_b32_e32 v7, 31, v0
	v_cmp_eq_u32_e64 s[2:3], 0, v7
	v_lshrrev_b32_e32 v6, 3, v0
	s_and_saveexec_b64 s[0:1], s[2:3]
	s_cbranch_execz .LBB32_53
; %bb.52:
	s_waitcnt lgkmcnt(0)
	v_add_f32_e32 v8, v8, v9
	ds_write_b32 v6, v8
.LBB32_53:
	s_or_b64 exec, exec, s[0:1]
	s_add_i32 s20, s20, 31
	s_lshr_b32 s0, s20, 5
	v_cmp_gt_u32_e64 s[0:1], s0, v0
	v_lshlrev_b32_e32 v7, 2, v7
	v_mov_b32_e32 v8, 0
	s_waitcnt lgkmcnt(0)
	s_barrier
	s_and_saveexec_b64 s[4:5], s[0:1]
	s_cbranch_execz .LBB32_55
; %bb.54:
	ds_read_b32 v8, v7
.LBB32_55:
	s_or_b64 exec, exec, s[4:5]
	v_cmp_gt_u32_e64 s[4:5], 32, v0
	s_and_saveexec_b64 s[6:7], s[4:5]
	s_cbranch_execz .LBB32_57
; %bb.56:
	s_waitcnt lgkmcnt(0)
	ds_bpermute_b32 v9, v1, v8
	s_waitcnt lgkmcnt(0)
	v_add_f32_e32 v8, v8, v9
	ds_bpermute_b32 v9, v2, v8
	s_waitcnt lgkmcnt(0)
	v_add_f32_e32 v8, v8, v9
	;; [unrolled: 3-line block ×5, first 2 shown]
.LBB32_57:
	s_or_b64 exec, exec, s[6:7]
	s_lshr_b32 s20, s14, 2
	s_cmp_lg_u32 s15, 0
	s_mov_b32 s17, 0
	v_cmp_eq_u32_e64 s[6:7], 0, v0
	s_cselect_b64 s[8:9], -1, 0
	s_and_saveexec_b64 s[10:11], s[6:7]
	s_cbranch_execz .LBB32_61
; %bb.58:
	s_add_i32 s16, s20, s19
	s_lshl_b64 s[14:15], s[16:17], 2
	s_add_u32 s14, s12, s14
	s_addc_u32 s15, s13, s15
	s_andn2_b64 vcc, exec, s[8:9]
	s_cbranch_vccnz .LBB32_60
; %bb.59:
	s_load_dword s16, s[14:15], 0x0
	s_waitcnt lgkmcnt(0)
	v_add_f32_e32 v8, s16, v8
.LBB32_60:
	v_mov_b32_e32 v0, 0
	s_waitcnt lgkmcnt(0)
	global_store_dword v0, v8, s[14:15]
.LBB32_61:
	s_or_b64 exec, exec, s[10:11]
	ds_bpermute_b32 v0, v1, v27
	s_waitcnt lgkmcnt(0)
	s_barrier
	v_add_f32_e32 v0, v27, v0
	ds_bpermute_b32 v8, v2, v0
	s_waitcnt lgkmcnt(0)
	v_add_f32_e32 v0, v0, v8
	ds_bpermute_b32 v8, v3, v0
	s_waitcnt lgkmcnt(0)
	;; [unrolled: 3-line block ×3, first 2 shown]
	v_add_f32_e32 v0, v0, v8
	ds_bpermute_b32 v8, v5, v0
	s_and_saveexec_b64 s[10:11], s[2:3]
	s_cbranch_execz .LBB32_63
; %bb.62:
	s_waitcnt lgkmcnt(0)
	v_add_f32_e32 v0, v0, v8
	ds_write_b32 v6, v0
.LBB32_63:
	s_or_b64 exec, exec, s[10:11]
	v_mov_b32_e32 v0, 0
	s_waitcnt lgkmcnt(0)
	s_barrier
	s_and_saveexec_b64 s[2:3], s[0:1]
	s_cbranch_execnz .LBB32_66
; %bb.64:
	s_or_b64 exec, exec, s[2:3]
	s_and_saveexec_b64 s[0:1], s[4:5]
	s_cbranch_execnz .LBB32_67
.LBB32_65:
	s_or_b64 exec, exec, s[0:1]
	s_and_saveexec_b64 s[0:1], s[6:7]
	s_cbranch_execnz .LBB32_68
	s_branch .LBB32_72
.LBB32_66:
	ds_read_b32 v0, v7
	s_or_b64 exec, exec, s[2:3]
	s_and_saveexec_b64 s[0:1], s[4:5]
	s_cbranch_execz .LBB32_65
.LBB32_67:
	s_waitcnt lgkmcnt(0)
	ds_bpermute_b32 v1, v1, v0
	s_waitcnt lgkmcnt(0)
	v_add_f32_e32 v0, v0, v1
	ds_bpermute_b32 v1, v2, v0
	s_waitcnt lgkmcnt(0)
	v_add_f32_e32 v0, v0, v1
	;; [unrolled: 3-line block ×5, first 2 shown]
	s_or_b64 exec, exec, s[0:1]
	s_and_saveexec_b64 s[0:1], s[6:7]
	s_cbranch_execz .LBB32_72
.LBB32_68:
	s_or_b32 s2, s19, 1
	s_cmp_ge_u32 s2, s18
	s_cbranch_scc1 .LBB32_72
; %bb.69:
	s_add_i32 s2, s20, s2
	s_mov_b32 s3, 0
	s_lshl_b64 s[2:3], s[2:3], 2
	s_add_u32 s2, s12, s2
	s_addc_u32 s3, s13, s3
	s_andn2_b64 vcc, exec, s[8:9]
	s_cbranch_vccnz .LBB32_71
; %bb.70:
	v_mov_b32_e32 v1, 0
	global_load_dword v1, v1, s[2:3]
	s_waitcnt vmcnt(0) lgkmcnt(0)
	v_add_f32_e32 v0, v0, v1
.LBB32_71:
	v_mov_b32_e32 v1, 0
	s_waitcnt lgkmcnt(0)
	global_store_dword v1, v0, s[2:3]
.LBB32_72:
	s_or_b64 exec, exec, s[0:1]
	s_waitcnt lgkmcnt(0)
	s_barrier
.LBB32_73:
	s_endpgm
	.section	.rodata,"a",@progbits
	.p2align	6, 0x0
	.amdhsa_kernel dmmv_q5k_mr2
		.amdhsa_group_segment_fixed_size 128
		.amdhsa_private_segment_fixed_size 0
		.amdhsa_kernarg_size 304
		.amdhsa_user_sgpr_count 6
		.amdhsa_user_sgpr_private_segment_buffer 1
		.amdhsa_user_sgpr_dispatch_ptr 0
		.amdhsa_user_sgpr_queue_ptr 0
		.amdhsa_user_sgpr_kernarg_segment_ptr 1
		.amdhsa_user_sgpr_dispatch_id 0
		.amdhsa_user_sgpr_flat_scratch_init 0
		.amdhsa_user_sgpr_kernarg_preload_length 0
		.amdhsa_user_sgpr_kernarg_preload_offset 0
		.amdhsa_user_sgpr_private_segment_size 0
		.amdhsa_uses_dynamic_stack 0
		.amdhsa_system_sgpr_private_segment_wavefront_offset 0
		.amdhsa_system_sgpr_workgroup_id_x 1
		.amdhsa_system_sgpr_workgroup_id_y 0
		.amdhsa_system_sgpr_workgroup_id_z 0
		.amdhsa_system_sgpr_workgroup_info 0
		.amdhsa_system_vgpr_workitem_id 0
		.amdhsa_next_free_vgpr 79
		.amdhsa_next_free_sgpr 31
		.amdhsa_accum_offset 80
		.amdhsa_reserve_vcc 1
		.amdhsa_reserve_flat_scratch 0
		.amdhsa_float_round_mode_32 0
		.amdhsa_float_round_mode_16_64 0
		.amdhsa_float_denorm_mode_32 3
		.amdhsa_float_denorm_mode_16_64 3
		.amdhsa_dx10_clamp 1
		.amdhsa_ieee_mode 1
		.amdhsa_fp16_overflow 0
		.amdhsa_tg_split 0
		.amdhsa_exception_fp_ieee_invalid_op 0
		.amdhsa_exception_fp_denorm_src 0
		.amdhsa_exception_fp_ieee_div_zero 0
		.amdhsa_exception_fp_ieee_overflow 0
		.amdhsa_exception_fp_ieee_underflow 0
		.amdhsa_exception_fp_ieee_inexact 0
		.amdhsa_exception_int_div_zero 0
	.end_amdhsa_kernel
	.text
.Lfunc_end32:
	.size	dmmv_q5k_mr2, .Lfunc_end32-dmmv_q5k_mr2
                                        ; -- End function
	.section	.AMDGPU.csdata,"",@progbits
; Kernel info:
; codeLenInByte = 4196
; NumSgprs: 35
; NumVgprs: 79
; NumAgprs: 0
; TotalNumVgprs: 79
; ScratchSize: 0
; MemoryBound: 0
; FloatMode: 240
; IeeeMode: 1
; LDSByteSize: 128 bytes/workgroup (compile time only)
; SGPRBlocks: 4
; VGPRBlocks: 9
; NumSGPRsForWavesPerEU: 35
; NumVGPRsForWavesPerEU: 79
; AccumOffset: 80
; Occupancy: 6
; WaveLimiterHint : 1
; COMPUTE_PGM_RSRC2:SCRATCH_EN: 0
; COMPUTE_PGM_RSRC2:USER_SGPR: 6
; COMPUTE_PGM_RSRC2:TRAP_HANDLER: 0
; COMPUTE_PGM_RSRC2:TGID_X_EN: 1
; COMPUTE_PGM_RSRC2:TGID_Y_EN: 0
; COMPUTE_PGM_RSRC2:TGID_Z_EN: 0
; COMPUTE_PGM_RSRC2:TIDIG_COMP_CNT: 0
; COMPUTE_PGM_RSRC3_GFX90A:ACCUM_OFFSET: 19
; COMPUTE_PGM_RSRC3_GFX90A:TG_SPLIT: 0
	.text
	.protected	gemm_q4k_tiled          ; -- Begin function gemm_q4k_tiled
	.globl	gemm_q4k_tiled
	.p2align	8
	.type	gemm_q4k_tiled,@function
gemm_q4k_tiled:                         ; @gemm_q4k_tiled
; %bb.0:
	s_load_dwordx4 s[76:79], s[4:5], 0x0
	s_load_dwordx2 s[70:71], s[4:5], 0x10
	s_load_dwordx4 s[72:75], s[4:5], 0x18
	s_lshl_b32 s0, s6, 3
	s_lshl_b32 s33, s7, 5
	v_lshrrev_b32_e32 v6, 5, v0
	v_and_b32_e32 v4, 31, v0
	s_waitcnt lgkmcnt(0)
	s_cmpk_gt_u32 s73, 0xff
	v_add_u32_e32 v72, s0, v6
	s_cbranch_scc0 .LBB33_96
; %bb.1:
	s_load_dword s1, s[4:5], 0x28
	s_lshr_b32 s86, s73, 8
	s_lshr_b32 s75, s75, 2
	v_add_u32_e32 v5, s0, v6
	v_and_b32_e32 v3, 0xff, v0
	s_waitcnt lgkmcnt(0)
	s_and_b32 s0, s1, -4
	s_add_u32 s0, s78, s0
	s_addc_u32 s1, s79, 0
	v_lshrrev_b32_e32 v2, 8, v0
	v_lshlrev_b32_e32 v0, 2, v3
	v_mov_b32_e32 v7, s1
	v_add_co_u32_e64 v75, s[0:1], s0, v0
	v_lshlrev_b32_e32 v9, 2, v2
	v_lshl_add_u32 v1, v4, 3, v6
	v_addc_co_u32_e64 v76, s[0:1], 0, v7, s[0:1]
	v_mov_b32_e32 v7, 0x8000
	v_or_b32_e32 v8, s33, v2
	v_lshl_or_b32 v78, v3, 7, v9
	v_add_u32_e32 v9, s33, v2
	v_lshl_or_b32 v77, v1, 2, v7
	v_mad_u64_u32 v[0:1], s[2:3], v8, s73, 0
	v_add_u32_e32 v2, 1, v9
	v_cmp_gt_u32_e64 s[2:3], s74, v2
	v_mad_u64_u32 v[2:3], s[6:7], v2, s73, 0
	v_add_u32_e32 v10, 2, v9
	v_cmp_gt_u32_e64 s[6:7], s74, v10
	v_mad_u64_u32 v[10:11], s[8:9], v10, s73, 0
	v_add_u32_e32 v12, 3, v9
	v_cmp_gt_u32_e64 s[8:9], s74, v12
	v_mad_u64_u32 v[12:13], s[10:11], v12, s73, 0
	v_or_b32_e32 v14, 4, v8
	v_cmp_gt_u32_e64 s[10:11], s74, v14
	v_mad_u64_u32 v[14:15], s[12:13], v14, s73, 0
	v_add_u32_e32 v16, 5, v9
	v_cmp_gt_u32_e64 s[12:13], s74, v16
	v_mad_u64_u32 v[16:17], s[14:15], v16, s73, 0
	v_add_u32_e32 v18, 6, v9
	v_cmp_gt_u32_e64 s[14:15], s74, v18
	v_mad_u64_u32 v[18:19], s[16:17], v18, s73, 0
	v_add_u32_e32 v20, 7, v9
	v_cmp_gt_u32_e64 s[16:17], s74, v20
	v_mad_u64_u32 v[20:21], s[18:19], v20, s73, 0
	v_or_b32_e32 v22, 8, v8
	v_cmp_gt_u32_e64 s[18:19], s74, v22
	v_mad_u64_u32 v[22:23], s[20:21], v22, s73, 0
	v_add_u32_e32 v24, 9, v9
	v_cmp_gt_u32_e64 s[20:21], s74, v24
	v_mad_u64_u32 v[24:25], s[22:23], v24, s73, 0
	v_add_u32_e32 v26, 10, v9
	v_cmp_gt_u32_e64 s[22:23], s74, v26
	v_mad_u64_u32 v[26:27], s[24:25], v26, s73, 0
	v_add_u32_e32 v28, 11, v9
	v_cmp_gt_u32_e64 s[24:25], s74, v28
	v_mad_u64_u32 v[28:29], s[26:27], v28, s73, 0
	v_or_b32_e32 v30, 12, v8
	v_cmp_gt_u32_e64 s[26:27], s74, v30
	v_mad_u64_u32 v[30:31], s[28:29], v30, s73, 0
	v_add_u32_e32 v32, 13, v9
	v_cmp_gt_u32_e64 s[28:29], s74, v32
	v_mad_u64_u32 v[32:33], s[30:31], v32, s73, 0
	v_add_u32_e32 v34, 14, v9
	v_cmp_gt_u32_e64 s[30:31], s74, v34
	v_mad_u64_u32 v[34:35], s[34:35], v34, s73, 0
	v_add_u32_e32 v36, 15, v9
	v_cmp_gt_u32_e64 s[34:35], s74, v36
	v_mad_u64_u32 v[36:37], s[36:37], v36, s73, 0
	v_or_b32_e32 v38, 16, v8
	v_cmp_gt_u32_e64 s[36:37], s74, v38
	v_mad_u64_u32 v[38:39], s[38:39], v38, s73, 0
	v_add_u32_e32 v40, 17, v9
	v_cmp_gt_u32_e64 s[38:39], s74, v40
	v_mad_u64_u32 v[40:41], s[40:41], v40, s73, 0
	v_add_u32_e32 v42, 18, v9
	v_cmp_gt_u32_e64 s[40:41], s74, v42
	v_mad_u64_u32 v[42:43], s[42:43], v42, s73, 0
	v_add_u32_e32 v44, 19, v9
	v_cmp_gt_u32_e64 s[42:43], s74, v44
	v_mad_u64_u32 v[44:45], s[44:45], v44, s73, 0
	v_or_b32_e32 v46, 20, v8
	v_cmp_gt_u32_e64 s[44:45], s74, v46
	v_mad_u64_u32 v[46:47], s[46:47], v46, s73, 0
	v_add_u32_e32 v48, 21, v9
	v_cmp_gt_u32_e64 s[46:47], s74, v48
	v_mad_u64_u32 v[48:49], s[48:49], v48, s73, 0
	v_add_u32_e32 v50, 22, v9
	v_cmp_gt_u32_e64 s[48:49], s74, v50
	v_mad_u64_u32 v[50:51], s[50:51], v50, s73, 0
	v_add_u32_e32 v52, 23, v9
	v_cmp_gt_u32_e64 s[50:51], s74, v52
	v_mad_u64_u32 v[52:53], s[52:53], v52, s73, 0
	v_or_b32_e32 v54, 24, v8
	v_cmp_gt_u32_e64 s[52:53], s74, v54
	v_mad_u64_u32 v[54:55], s[54:55], v54, s73, 0
	v_add_u32_e32 v56, 25, v9
	v_cmp_gt_u32_e64 s[54:55], s74, v56
	v_mad_u64_u32 v[56:57], s[56:57], v56, s73, 0
	v_add_u32_e32 v58, 26, v9
	v_cmp_gt_u32_e64 s[56:57], s74, v58
	;; [unrolled: 3-line block ×3, first 2 shown]
	v_cmp_gt_u32_e64 s[58:59], s74, v60
	v_mad_u64_u32 v[60:61], s[60:61], v60, s73, 0
	v_or_b32_e32 v8, 28, v8
	v_cmp_gt_u32_e64 s[60:61], s74, v8
	v_mad_u64_u32 v[62:63], s[62:63], v8, s73, 0
	v_add_u32_e32 v8, 29, v9
	v_cmp_gt_u32_e64 s[62:63], s74, v8
	v_mad_u64_u32 v[64:65], s[64:65], v8, s73, 0
	v_add_u32_e32 v8, 30, v9
	;; [unrolled: 3-line block ×3, first 2 shown]
	v_mad_u64_u32 v[68:69], s[68:69], v8, s73, 0
	s_mov_b32 s81, 0
	v_cmp_le_u32_e32 vcc, s72, v5
	v_mul_lo_u32 v73, s86, v5
	v_mov_b32_e32 v74, 0
	v_cmp_gt_u32_e64 s[66:67], s74, v8
	v_lshl_or_b32 v79, v6, 2, v7
	v_lshlrev_b32_e32 v80, 2, v4
	s_mov_b32 s73, 0x7f800000
	s_movk_i32 s87, 0x3ff
	s_mov_b32 s88, 0x7fc000
	s_brev_b32 s89, 1
	v_lshlrev_b64 v[6:7], 2, v[0:1]
	v_lshlrev_b64 v[8:9], 2, v[2:3]
	;; [unrolled: 1-line block ×32, first 2 shown]
	v_mov_b32_e32 v81, 13
	v_mov_b32_e32 v82, 15
	;; [unrolled: 1-line block ×3, first 2 shown]
	s_mov_b32 s90, 0
.LBB33_2:                               ; =>This Loop Header: Depth=1
                                        ;     Child Loop BB33_93 Depth 2
	s_and_saveexec_b64 s[68:69], vcc
	s_xor_b64 s[68:69], exec, s[68:69]
	s_cbranch_execz .LBB33_4
; %bb.3:                                ;   in Loop: Header=BB33_2 Depth=1
	ds_write2st64_b32 v77, v74, v74 offset1:4
	ds_write2st64_b32 v77, v74, v74 offset0:8 offset1:12
	ds_write2st64_b32 v77, v74, v74 offset0:16 offset1:20
	;; [unrolled: 1-line block ×3, first 2 shown]
.LBB33_4:                               ;   in Loop: Header=BB33_2 Depth=1
	s_andn2_saveexec_b64 s[78:79], s[68:69]
	s_cbranch_execz .LBB33_28
; %bb.5:                                ;   in Loop: Header=BB33_2 Depth=1
	v_add_u32_e32 v1, s90, v73
	v_mov_b32_e32 v0, s75
	v_mad_u64_u32 v[0:1], s[68:69], v1, 36, v[0:1]
	v_mov_b32_e32 v1, v74
	v_lshlrev_b64 v[0:1], 2, v[0:1]
	v_mov_b32_e32 v2, s77
	v_add_co_u32_e64 v70, s[68:69], s76, v0
	v_addc_co_u32_e64 v71, s[68:69], v2, v1, s[68:69]
	global_load_dword v0, v[70:71], off
	s_waitcnt vmcnt(0)
	v_bfe_u32 v1, v0, 15, 1
	v_bfe_u32 v2, v0, 10, 5
	v_cmp_lt_i32_e64 s[68:69], 30, v2
	v_lshlrev_b32_e32 v83, 31, v1
	s_and_saveexec_b64 s[82:83], s[68:69]
	s_xor_b64 s[68:69], exec, s[82:83]
; %bb.6:                                ;   in Loop: Header=BB33_2 Depth=1
	v_lshlrev_b32_e32 v1, 31, v1
	v_lshlrev_b32_sdwa v2, v81, v0 dst_sel:DWORD dst_unused:UNUSED_PAD src0_sel:DWORD src1_sel:WORD_0
	v_or3_b32 v83, v1, v2, s73
                                        ; implicit-def: $vgpr2
                                        ; implicit-def: $vgpr1
; %bb.7:                                ;   in Loop: Header=BB33_2 Depth=1
	s_andn2_saveexec_b64 s[82:83], s[68:69]
	s_cbranch_execz .LBB33_15
; %bb.8:                                ;   in Loop: Header=BB33_2 Depth=1
	v_and_b32_e32 v84, 0x3ff, v0
	v_cmp_ne_u32_e64 s[68:69], 0, v2
	s_and_saveexec_b64 s[84:85], s[68:69]
	s_xor_b64 s[68:69], exec, s[84:85]
; %bb.9:                                ;   in Loop: Header=BB33_2 Depth=1
	v_lshlrev_b32_e32 v1, 31, v1
	v_lshlrev_b32_e32 v2, 23, v2
	;; [unrolled: 1-line block ×3, first 2 shown]
	v_or3_b32 v1, v2, v1, v83
	v_add_u32_e32 v83, 0x38000000, v1
                                        ; implicit-def: $vgpr84
                                        ; implicit-def: $vgpr1
; %bb.10:                               ;   in Loop: Header=BB33_2 Depth=1
	s_andn2_saveexec_b64 s[84:85], s[68:69]
	s_cbranch_execz .LBB33_14
; %bb.11:                               ;   in Loop: Header=BB33_2 Depth=1
	v_cmp_ne_u32_e64 s[68:69], 0, v84
	s_and_saveexec_b64 s[92:93], s[68:69]
	s_xor_b64 s[68:69], exec, s[92:93]
; %bb.12:                               ;   in Loop: Header=BB33_2 Depth=1
	v_ffbh_u32_e32 v2, v84
	v_xor_b32_e32 v83, 31, v2
	v_sub_u32_e32 v83, 9, v83
	v_lshlrev_b32_e32 v83, v83, v0
	v_lshlrev_b32_e32 v1, 31, v1
	;; [unrolled: 1-line block ×4, first 2 shown]
	v_and_or_b32 v1, v83, s88, v1
	v_sub_u32_e32 v1, v1, v2
	v_add_u32_e32 v83, 0x43000000, v1
; %bb.13:                               ;   in Loop: Header=BB33_2 Depth=1
	s_andn2_saveexec_b64 s[68:69], s[68:69]
	s_or_b64 exec, exec, s[68:69]
.LBB33_14:                              ;   in Loop: Header=BB33_2 Depth=1
	s_or_b64 exec, exec, s[84:85]
.LBB33_15:                              ;   in Loop: Header=BB33_2 Depth=1
	s_or_b64 exec, exec, s[82:83]
	v_bfe_u32 v2, v0, 26, 5
	v_cmp_lt_i32_e64 s[68:69], 30, v2
                                        ; implicit-def: $vgpr84
	s_and_saveexec_b64 s[82:83], s[68:69]
	s_xor_b64 s[68:69], exec, s[82:83]
; %bb.16:                               ;   in Loop: Header=BB33_2 Depth=1
	v_and_b32_e32 v1, 0x80000000, v0
	v_lshlrev_b32_sdwa v0, v81, v0 dst_sel:DWORD dst_unused:UNUSED_PAD src0_sel:DWORD src1_sel:WORD_1
	v_or3_b32 v84, v0, v1, s73
                                        ; implicit-def: $vgpr0
                                        ; implicit-def: $vgpr2
; %bb.17:                               ;   in Loop: Header=BB33_2 Depth=1
	s_andn2_saveexec_b64 s[82:83], s[68:69]
	s_cbranch_execz .LBB33_27
; %bb.18:                               ;   in Loop: Header=BB33_2 Depth=1
	v_and_b32_sdwa v1, v0, s87 dst_sel:DWORD dst_unused:UNUSED_PAD src0_sel:WORD_1 src1_sel:DWORD
	v_cmp_ne_u32_e64 s[68:69], 0, v2
                                        ; implicit-def: $vgpr84
	s_and_saveexec_b64 s[84:85], s[68:69]
	s_xor_b64 s[68:69], exec, s[84:85]
; %bb.19:                               ;   in Loop: Header=BB33_2 Depth=1
	v_and_b32_e32 v0, 0x80000000, v0
	v_lshlrev_b32_e32 v2, 23, v2
	v_lshlrev_b32_e32 v1, 13, v1
	v_or3_b32 v0, v2, v0, v1
	v_add_u32_e32 v84, 0x38000000, v0
                                        ; implicit-def: $vgpr0
                                        ; implicit-def: $vgpr1
; %bb.20:                               ;   in Loop: Header=BB33_2 Depth=1
	s_andn2_saveexec_b64 s[84:85], s[68:69]
	s_cbranch_execz .LBB33_26
; %bb.21:                               ;   in Loop: Header=BB33_2 Depth=1
	v_cmp_ne_u32_e64 s[68:69], 0, v1
                                        ; implicit-def: $vgpr84
	s_and_saveexec_b64 s[92:93], s[68:69]
	s_xor_b64 s[68:69], exec, s[92:93]
; %bb.22:                               ;   in Loop: Header=BB33_2 Depth=1
	v_ffbh_u32_e32 v1, v1
	v_xor_b32_e32 v2, 31, v1
	v_sub_u32_e32 v2, 9, v2
	v_lshlrev_b32_sdwa v2, v2, v0 dst_sel:DWORD dst_unused:UNUSED_PAD src0_sel:DWORD src1_sel:WORD_1
	v_lshlrev_b32_e32 v2, 14, v2
	v_and_b32_e32 v2, 0x7fc000, v2
	v_lshlrev_b32_e32 v1, 23, v1
	v_and_or_b32 v0, v0, s89, v2
	v_sub_u32_e32 v0, v0, v1
	v_add_u32_e32 v84, 0x43000000, v0
                                        ; implicit-def: $vgpr0
; %bb.23:                               ;   in Loop: Header=BB33_2 Depth=1
	s_andn2_saveexec_b64 s[68:69], s[68:69]
; %bb.24:                               ;   in Loop: Header=BB33_2 Depth=1
	v_and_b32_e32 v84, 0x80000000, v0
; %bb.25:                               ;   in Loop: Header=BB33_2 Depth=1
	s_or_b64 exec, exec, s[68:69]
.LBB33_26:                              ;   in Loop: Header=BB33_2 Depth=1
	s_or_b64 exec, exec, s[84:85]
.LBB33_27:                              ;   in Loop: Header=BB33_2 Depth=1
	s_or_b64 exec, exec, s[82:83]
	global_load_dwordx3 v[0:2], v[70:71], off offset:4
	v_add_co_u32_e64 v70, s[68:69], v70, v4
	v_addc_co_u32_e64 v71, s[68:69], 0, v71, s[68:69]
	global_load_ubyte v85, v[70:71], off offset:16
	global_load_ubyte v86, v[70:71], off offset:48
	;; [unrolled: 1-line block ×3, first 2 shown]
	s_nop 0
	global_load_ubyte v70, v[70:71], off offset:112
	s_waitcnt vmcnt(4)
	v_lshrrev_b32_e32 v71, 8, v0
	v_lshrrev_b32_e32 v88, 8, v1
	;; [unrolled: 1-line block ×3, first 2 shown]
	v_and_b32_e32 v90, 63, v0
	v_and_b32_e32 v91, 63, v1
	v_bfe_u32 v92, v0, 8, 6
	v_bfe_u32 v93, v1, 8, 6
	;; [unrolled: 1-line block ×4, first 2 shown]
	v_lshrrev_b16_e32 v98, 2, v1
	v_lshrrev_b16_e32 v99, 4, v2
	;; [unrolled: 1-line block ×3, first 2 shown]
	v_bfe_u32 v94, v0, 16, 6
	v_bfe_u32 v95, v1, 16, 6
	v_and_b32_e32 v101, 15, v2
	s_waitcnt vmcnt(3)
	v_and_b32_e32 v104, 15, v85
	v_cvt_f32_ubyte0_e32 v90, v90
	v_cvt_f32_ubyte0_e32 v91, v91
	v_lshrrev_b32_e32 v85, 4, v85
	v_cvt_f32_ubyte0_e32 v92, v92
	v_cvt_f32_ubyte0_e32 v93, v93
	s_waitcnt vmcnt(2)
	v_and_b32_e32 v105, 15, v86
	v_lshrrev_b32_e32 v86, 4, v86
	v_cvt_f32_ubyte0_e32 v96, v96
	v_cvt_f32_ubyte0_e32 v97, v97
	v_and_b32_e32 v98, 48, v98
	v_and_b32_e32 v99, 15, v99
	;; [unrolled: 1-line block ×3, first 2 shown]
	v_lshrrev_b16_e32 v88, 2, v88
	v_lshrrev_b16_e32 v107, 4, v89
	;; [unrolled: 1-line block ×3, first 2 shown]
	v_cvt_f32_ubyte0_e32 v94, v94
	v_cvt_f32_ubyte0_e32 v95, v95
	v_and_b32_e32 v89, 15, v89
	v_mul_f32_e32 v90, v83, v90
	v_cvt_f32_ubyte0_e32 v104, v104
	v_mul_f32_e32 v91, v84, v91
	v_mul_f32_e32 v92, v83, v92
	v_cvt_f32_ubyte0_e32 v85, v85
	v_mul_f32_e32 v93, v84, v93
	;; [unrolled: 3-line block ×3, first 2 shown]
	v_or_b32_e32 v98, v98, v99
	v_or_b32_e32 v99, v100, v101
	v_and_b32_e32 v88, 48, v88
	v_and_b32_e32 v101, 15, v107
	;; [unrolled: 1-line block ×3, first 2 shown]
	s_waitcnt vmcnt(1)
	v_and_b32_e32 v106, 15, v87
	v_mul_f32_e32 v94, v83, v94
	v_cvt_f32_ubyte0_e32 v105, v105
	v_mul_f32_e32 v95, v84, v95
	v_fma_f32 v90, v90, v104, -v91
	v_fma_f32 v85, v92, v85, -v93
	;; [unrolled: 1-line block ×3, first 2 shown]
	v_cvt_f32_ubyte0_e32 v92, v99
	v_cvt_f32_ubyte0_e32 v93, v98
	v_or_b32_e32 v88, v88, v101
	v_or_b32_e32 v71, v71, v89
	v_lshrrev_b32_e32 v87, 4, v87
	v_cvt_f32_ubyte0_e32 v100, v106
	v_fma_f32 v91, v94, v105, -v95
	ds_write2st64_b32 v77, v90, v85 offset1:4
	ds_write2st64_b32 v77, v91, v86 offset0:8 offset1:12
	v_mul_f32_e32 v85, v83, v92
	v_mul_f32_e32 v86, v84, v93
	v_cvt_f32_ubyte0_e32 v71, v71
	v_cvt_f32_ubyte0_e32 v88, v88
	;; [unrolled: 1-line block ×3, first 2 shown]
	v_fma_f32 v85, v85, v100, -v86
	v_mul_f32_e32 v71, v83, v71
	v_mul_f32_e32 v86, v84, v88
	v_fma_f32 v71, v71, v87, -v86
	v_lshrrev_b32_e32 v102, 18, v1
	v_lshrrev_b32_e32 v103, 20, v2
	ds_write2st64_b32 v77, v85, v71 offset0:16 offset1:20
	v_lshrrev_b32_e32 v71, 18, v0
	v_and_b32_e32 v102, 48, v102
	v_and_b32_e32 v103, 15, v103
	;; [unrolled: 1-line block ×3, first 2 shown]
	v_and_b32_sdwa v85, v2, v82 dst_sel:DWORD dst_unused:UNUSED_PAD src0_sel:WORD_1 src1_sel:DWORD
	v_or_b32_e32 v102, v102, v103
	v_or_b32_e32 v71, v71, v85
	s_waitcnt vmcnt(0)
	v_and_b32_e32 v85, 15, v70
	v_cvt_f32_ubyte0_e32 v71, v71
	v_cvt_f32_ubyte0_e32 v86, v102
	v_mul_f32_e32 v71, v83, v71
	v_cvt_f32_ubyte0_e32 v85, v85
	v_mul_f32_e32 v86, v84, v86
	v_lshrrev_b32_e32 v1, 26, v1
	v_lshrrev_b32_e32 v0, 26, v0
	v_fma_f32 v71, v71, v85, -v86
	v_and_b32_e32 v1, 48, v1
	v_lshrrev_b32_e32 v85, 28, v2
	v_and_b32_e32 v0, 48, v0
	v_and_b32_sdwa v2, v2, v82 dst_sel:DWORD dst_unused:UNUSED_PAD src0_sel:BYTE_3 src1_sel:DWORD
	v_or_b32_e32 v1, v1, v85
	v_or_b32_e32 v0, v0, v2
	v_lshrrev_b32_e32 v2, 4, v70
	v_cvt_f32_ubyte0_e32 v0, v0
	v_cvt_f32_ubyte0_e32 v1, v1
	v_mul_f32_e32 v0, v83, v0
	v_cvt_f32_ubyte0_e32 v2, v2
	v_mul_f32_e32 v1, v84, v1
	v_fma_f32 v0, v0, v2, -v1
	ds_write2st64_b32 v77, v71, v0 offset0:24 offset1:28
.LBB33_28:                              ;   in Loop: Header=BB33_2 Depth=1
	s_or_b64 exec, exec, s[78:79]
	s_lshl_b32 s80, s90, 8
	s_lshl_b64 s[68:69], s[80:81], 2
	v_mov_b32_e32 v1, s69
	v_add_co_u32_e64 v0, s[68:69], s68, v75
	v_addc_co_u32_e64 v1, s[68:69], v76, v1, s[68:69]
	v_mov_b32_e32 v2, 0
	v_mov_b32_e32 v70, 0
	s_and_saveexec_b64 s[78:79], s[0:1]
	s_cbranch_execz .LBB33_30
; %bb.29:                               ;   in Loop: Header=BB33_2 Depth=1
	v_add_co_u32_e64 v70, s[68:69], v0, v6
	v_addc_co_u32_e64 v71, s[68:69], v1, v7, s[68:69]
	global_load_dword v70, v[70:71], off
.LBB33_30:                              ;   in Loop: Header=BB33_2 Depth=1
	s_or_b64 exec, exec, s[78:79]
	s_waitcnt vmcnt(0)
	ds_write_b32 v78, v70
	s_and_saveexec_b64 s[78:79], s[2:3]
	s_cbranch_execz .LBB33_32
; %bb.31:                               ;   in Loop: Header=BB33_2 Depth=1
	v_add_co_u32_e64 v70, s[68:69], v0, v8
	v_addc_co_u32_e64 v71, s[68:69], v1, v9, s[68:69]
	global_load_dword v2, v[70:71], off
.LBB33_32:                              ;   in Loop: Header=BB33_2 Depth=1
	s_or_b64 exec, exec, s[78:79]
	s_waitcnt vmcnt(0)
	ds_write_b32 v78, v2 offset:4
	v_mov_b32_e32 v2, 0
	v_mov_b32_e32 v70, 0
	s_and_saveexec_b64 s[78:79], s[6:7]
	s_cbranch_execz .LBB33_34
; %bb.33:                               ;   in Loop: Header=BB33_2 Depth=1
	v_add_co_u32_e64 v70, s[68:69], v0, v10
	v_addc_co_u32_e64 v71, s[68:69], v1, v11, s[68:69]
	global_load_dword v70, v[70:71], off
.LBB33_34:                              ;   in Loop: Header=BB33_2 Depth=1
	s_or_b64 exec, exec, s[78:79]
	s_waitcnt vmcnt(0)
	ds_write_b32 v78, v70 offset:8
	s_and_saveexec_b64 s[78:79], s[8:9]
	s_cbranch_execz .LBB33_36
; %bb.35:                               ;   in Loop: Header=BB33_2 Depth=1
	v_add_co_u32_e64 v70, s[68:69], v0, v12
	v_addc_co_u32_e64 v71, s[68:69], v1, v13, s[68:69]
	global_load_dword v2, v[70:71], off
.LBB33_36:                              ;   in Loop: Header=BB33_2 Depth=1
	s_or_b64 exec, exec, s[78:79]
	s_waitcnt vmcnt(0)
	ds_write_b32 v78, v2 offset:12
	v_mov_b32_e32 v2, 0
	v_mov_b32_e32 v70, 0
	s_and_saveexec_b64 s[78:79], s[10:11]
	s_cbranch_execz .LBB33_38
; %bb.37:                               ;   in Loop: Header=BB33_2 Depth=1
	v_add_co_u32_e64 v70, s[68:69], v0, v14
	v_addc_co_u32_e64 v71, s[68:69], v1, v15, s[68:69]
	global_load_dword v70, v[70:71], off
.LBB33_38:                              ;   in Loop: Header=BB33_2 Depth=1
	s_or_b64 exec, exec, s[78:79]
	s_waitcnt vmcnt(0)
	ds_write_b32 v78, v70 offset:16
	;; [unrolled: 22-line block ×15, first 2 shown]
	s_and_saveexec_b64 s[78:79], s[66:67]
	s_cbranch_execz .LBB33_92
; %bb.91:                               ;   in Loop: Header=BB33_2 Depth=1
	v_add_co_u32_e64 v0, s[68:69], v0, v68
	v_addc_co_u32_e64 v1, s[68:69], v1, v69, s[68:69]
	global_load_dword v2, v[0:1], off
.LBB33_92:                              ;   in Loop: Header=BB33_2 Depth=1
	s_or_b64 exec, exec, s[78:79]
	s_mov_b32 s68, 0
	v_mov_b32_e32 v0, v80
	s_waitcnt vmcnt(0)
	ds_write_b32 v78, v2 offset:124
	s_waitcnt lgkmcnt(0)
	s_barrier
.LBB33_93:                              ;   Parent Loop BB33_2 Depth=1
                                        ; =>  This Inner Loop Header: Depth=2
	v_add_u32_e32 v1, s68, v79
	ds_read2_b32 v[70:71], v0 offset1:32
	ds_read2_b32 v[84:85], v0 offset0:64 offset1:96
	ds_read2_b32 v[86:87], v0 offset0:128 offset1:160
	;; [unrolled: 1-line block ×3, first 2 shown]
	ds_read2_b32 v[90:91], v1 offset1:8
	ds_read2_b32 v[92:93], v1 offset0:16 offset1:24
	ds_read2_b32 v[94:95], v1 offset0:32 offset1:40
	;; [unrolled: 1-line block ×3, first 2 shown]
	s_addk_i32 s68, 0x100
	s_waitcnt lgkmcnt(3)
	v_fmac_f32_e32 v3, v90, v70
	v_fmac_f32_e32 v3, v91, v71
	s_waitcnt lgkmcnt(2)
	v_fmac_f32_e32 v3, v92, v84
	v_fmac_f32_e32 v3, v93, v85
	;; [unrolled: 3-line block ×3, first 2 shown]
	s_waitcnt lgkmcnt(0)
	v_fmac_f32_e32 v3, v96, v88
	v_add_u32_e32 v0, 0x400, v0
	s_cmpk_eq_i32 s68, 0x2000
	v_fmac_f32_e32 v3, v97, v89
	s_cbranch_scc0 .LBB33_93
; %bb.94:                               ;   in Loop: Header=BB33_2 Depth=1
	s_add_i32 s90, s90, 1
	s_cmp_eq_u32 s90, s86
	s_barrier
	s_cbranch_scc0 .LBB33_2
; %bb.95:
	s_branch .LBB33_98
.LBB33_96:
                                        ; implicit-def: $vgpr3
                                        ; implicit-def: $vgpr5
	s_cbranch_execz .LBB33_98
; %bb.97:
	v_mov_b32_e32 v3, 0
	v_mov_b32_e32 v5, v72
.LBB33_98:
	v_or_b32_e32 v0, s33, v4
	v_cmp_gt_u32_e32 vcc, s74, v0
	v_cmp_gt_u32_e64 s[0:1], s72, v5
	s_and_b64 s[0:1], vcc, s[0:1]
	s_and_saveexec_b64 s[2:3], s[0:1]
	s_cbranch_execz .LBB33_102
; %bb.99:
	s_load_dwordx2 s[0:1], s[4:5], 0x2c
	v_mul_lo_u32 v0, s72, v0
	v_mov_b32_e32 v1, 0
	v_mov_b32_e32 v2, s71
	s_waitcnt lgkmcnt(0)
	s_lshr_b32 s0, s0, 2
	v_add3_u32 v0, v0, v5, s0
	v_lshlrev_b64 v[0:1], 2, v[0:1]
	v_add_co_u32_e32 v0, vcc, s70, v0
	s_cmp_eq_u32 s1, 0
	v_addc_co_u32_e32 v1, vcc, v2, v1, vcc
	s_cbranch_scc1 .LBB33_101
; %bb.100:
	global_load_dword v2, v[0:1], off
	s_waitcnt vmcnt(0)
	v_add_f32_e32 v3, v3, v2
.LBB33_101:
	global_store_dword v[0:1], v3, off
.LBB33_102:
	s_endpgm
	.section	.rodata,"a",@progbits
	.p2align	6, 0x0
	.amdhsa_kernel gemm_q4k_tiled
		.amdhsa_group_segment_fixed_size 40960
		.amdhsa_private_segment_fixed_size 0
		.amdhsa_kernarg_size 52
		.amdhsa_user_sgpr_count 6
		.amdhsa_user_sgpr_private_segment_buffer 1
		.amdhsa_user_sgpr_dispatch_ptr 0
		.amdhsa_user_sgpr_queue_ptr 0
		.amdhsa_user_sgpr_kernarg_segment_ptr 1
		.amdhsa_user_sgpr_dispatch_id 0
		.amdhsa_user_sgpr_flat_scratch_init 0
		.amdhsa_user_sgpr_kernarg_preload_length 0
		.amdhsa_user_sgpr_kernarg_preload_offset 0
		.amdhsa_user_sgpr_private_segment_size 0
		.amdhsa_uses_dynamic_stack 0
		.amdhsa_system_sgpr_private_segment_wavefront_offset 0
		.amdhsa_system_sgpr_workgroup_id_x 1
		.amdhsa_system_sgpr_workgroup_id_y 1
		.amdhsa_system_sgpr_workgroup_id_z 0
		.amdhsa_system_sgpr_workgroup_info 0
		.amdhsa_system_vgpr_workitem_id 0
		.amdhsa_next_free_vgpr 108
		.amdhsa_next_free_sgpr 94
		.amdhsa_accum_offset 108
		.amdhsa_reserve_vcc 1
		.amdhsa_reserve_flat_scratch 0
		.amdhsa_float_round_mode_32 0
		.amdhsa_float_round_mode_16_64 0
		.amdhsa_float_denorm_mode_32 3
		.amdhsa_float_denorm_mode_16_64 3
		.amdhsa_dx10_clamp 1
		.amdhsa_ieee_mode 1
		.amdhsa_fp16_overflow 0
		.amdhsa_tg_split 0
		.amdhsa_exception_fp_ieee_invalid_op 0
		.amdhsa_exception_fp_denorm_src 0
		.amdhsa_exception_fp_ieee_div_zero 0
		.amdhsa_exception_fp_ieee_overflow 0
		.amdhsa_exception_fp_ieee_underflow 0
		.amdhsa_exception_fp_ieee_inexact 0
		.amdhsa_exception_int_div_zero 0
	.end_amdhsa_kernel
	.text
.Lfunc_end33:
	.size	gemm_q4k_tiled, .Lfunc_end33-gemm_q4k_tiled
                                        ; -- End function
	.section	.AMDGPU.csdata,"",@progbits
; Kernel info:
; codeLenInByte = 4252
; NumSgprs: 98
; NumVgprs: 108
; NumAgprs: 0
; TotalNumVgprs: 108
; ScratchSize: 0
; MemoryBound: 0
; FloatMode: 240
; IeeeMode: 1
; LDSByteSize: 40960 bytes/workgroup (compile time only)
; SGPRBlocks: 12
; VGPRBlocks: 13
; NumSGPRsForWavesPerEU: 98
; NumVGPRsForWavesPerEU: 108
; AccumOffset: 108
; Occupancy: 4
; WaveLimiterHint : 0
; COMPUTE_PGM_RSRC2:SCRATCH_EN: 0
; COMPUTE_PGM_RSRC2:USER_SGPR: 6
; COMPUTE_PGM_RSRC2:TRAP_HANDLER: 0
; COMPUTE_PGM_RSRC2:TGID_X_EN: 1
; COMPUTE_PGM_RSRC2:TGID_Y_EN: 1
; COMPUTE_PGM_RSRC2:TGID_Z_EN: 0
; COMPUTE_PGM_RSRC2:TIDIG_COMP_CNT: 0
; COMPUTE_PGM_RSRC3_GFX90A:ACCUM_OFFSET: 26
; COMPUTE_PGM_RSRC3_GFX90A:TG_SPLIT: 0
	.text
	.protected	gemm_q4k_tiled_v2       ; -- Begin function gemm_q4k_tiled_v2
	.globl	gemm_q4k_tiled_v2
	.p2align	8
	.type	gemm_q4k_tiled_v2,@function
gemm_q4k_tiled_v2:                      ; @gemm_q4k_tiled_v2
; %bb.0:
	s_load_dwordx4 s[44:47], s[4:5], 0x0
	s_load_dwordx2 s[38:39], s[4:5], 0x10
	s_load_dwordx4 s[40:43], s[4:5], 0x18
	s_load_dwordx2 s[48:49], s[4:5], 0x2c
	v_lshrrev_b32_e32 v1, 4, v0
	s_lshl_b32 s33, s6, 6
	s_lshl_b32 s56, s7, 6
	v_and_b32_e32 v2, 15, v0
	s_waitcnt lgkmcnt(0)
	s_cmp_gt_u32 s41, 31
	v_lshlrev_b32_e32 v52, 2, v1
	v_lshlrev_b32_e32 v53, 2, v2
	s_cbranch_scc0 .LBB34_243
; %bb.1:
	v_and_b32_e32 v54, 31, v0
	v_lshrrev_b32_e32 v4, 5, v0
	s_lshr_b32 s16, s41, 8
	v_lshlrev_b32_e32 v3, 6, v54
	v_or_b32_e32 v5, s33, v4
	v_cmp_gt_u32_e64 s[0:1], s40, v5
	v_mul_lo_u32 v55, v5, s16
	v_or_b32_e32 v5, v4, v3
	v_lshlrev_b32_e32 v56, 2, v5
	v_add_u32_e32 v5, 0x100, v0
	v_lshrrev_b32_e32 v5, 5, v5
	v_or_b32_e32 v6, s33, v5
	v_cmp_gt_u32_e64 s[2:3], s40, v6
	v_mul_lo_u32 v57, v6, s16
	v_or_b32_e32 v6, v5, v3
	v_lshlrev_b32_e32 v58, 2, v6
	v_add_u32_e32 v6, 0x200, v0
	v_lshrrev_b32_e32 v6, 5, v6
	v_or_b32_e32 v7, s33, v6
	s_load_dword s36, s[4:5], 0x28
	v_cmp_gt_u32_e64 s[4:5], s40, v7
	v_mul_lo_u32 v59, v7, s16
	v_or_b32_e32 v7, v6, v3
	v_lshlrev_b32_e32 v60, 2, v7
	v_add_u32_e32 v7, 0x300, v0
	v_lshrrev_b32_e32 v7, 5, v7
	v_or_b32_e32 v8, s33, v7
	v_cmp_gt_u32_e64 s[6:7], s40, v8
	v_mul_lo_u32 v61, v8, s16
	v_or_b32_e32 v8, v7, v3
	v_lshlrev_b32_e32 v62, 2, v8
	v_or_b32_e32 v8, 32, v4
	v_or_b32_e32 v9, s33, v8
	v_cmp_gt_u32_e64 s[8:9], s40, v9
	v_mul_lo_u32 v63, v9, s16
	v_add_u32_e32 v9, 0x500, v0
	v_lshrrev_b32_e32 v9, 5, v9
	v_add_u32_e32 v10, s33, v9
	v_cmp_gt_u32_e64 s[10:11], s40, v10
	v_mul_lo_u32 v64, v10, s16
	v_add_u32_e32 v10, 0x600, v0
	v_lshrrev_b32_e32 v10, 5, v10
	v_add_u32_e32 v0, 0x700, v0
	v_add_u32_e32 v11, s33, v10
	v_lshrrev_b32_e32 v0, 5, v0
	v_add_lshl_u32 v65, v9, v3, 2
	v_cmp_gt_u32_e64 s[12:13], s40, v11
	v_mul_lo_u32 v66, v11, s16
	v_add_lshl_u32 v67, v10, v3, 2
	v_add_u32_e32 v11, s33, v0
	v_add_lshl_u32 v69, v0, v3, 2
	v_or_b32_e32 v3, s56, v4
	v_mul_lo_u32 v68, v11, s16
	v_cmp_gt_u32_e64 s[16:17], s42, v3
	v_or_b32_e32 v3, s56, v5
	v_cmp_gt_u32_e64 s[18:19], s42, v3
	v_or_b32_e32 v3, s56, v6
	;; [unrolled: 2-line block ×4, first 2 shown]
	v_cmp_gt_u32_e64 s[24:25], s42, v3
	v_add_u32_e32 v3, s56, v9
	v_add_u32_e32 v0, s56, v0
	v_mov_b32_e32 v9, 0x2000
	v_lshlrev_b32_e32 v35, 2, v1
	v_cmp_gt_u32_e64 s[30:31], s42, v0
	v_lshl_or_b32 v70, v1, 4, v9
	v_mad_u64_u32 v[0:1], s[34:35], s41, v0, 0
	s_lshr_b32 s57, s41, 5
	s_lshr_b32 s43, s43, 2
	s_waitcnt lgkmcnt(0)
	s_and_b32 s34, s36, -4
	s_add_u32 s36, s46, s34
	v_lshlrev_b64 v[0:1], 2, v[0:1]
	s_addc_u32 s37, s47, 0
	v_lshlrev_b32_e32 v51, 2, v2
	v_add_u32_e32 v8, s56, v10
	v_lshlrev_b32_e32 v71, 4, v2
	v_mov_b32_e32 v2, s37
	v_add_co_u32_e32 v16, vcc, s36, v0
	v_addc_co_u32_e32 v17, vcc, v2, v1, vcc
	v_mad_u64_u32 v[0:1], s[34:35], s41, v8, 0
	v_lshlrev_b64 v[0:1], 2, v[0:1]
	v_add_co_u32_e32 v18, vcc, s36, v0
	v_addc_co_u32_e32 v19, vcc, v2, v1, vcc
	v_mad_u64_u32 v[0:1], s[34:35], s41, v3, 0
	v_lshlrev_b64 v[0:1], 2, v[0:1]
	v_add_co_u32_e32 v20, vcc, s36, v0
	v_addc_co_u32_e32 v21, vcc, v2, v1, vcc
	v_add_u32_e32 v2, s56, v4
	v_add_u32_e32 v0, 32, v2
	v_mad_u64_u32 v[0:1], s[34:35], s41, v0, 0
	v_lshlrev_b64 v[0:1], 2, v[0:1]
	v_cmp_gt_u32_e64 s[26:27], s42, v3
	v_mov_b32_e32 v3, s37
	v_add_co_u32_e32 v22, vcc, s36, v0
	v_add_u32_e32 v0, s56, v7
	v_addc_co_u32_e32 v23, vcc, v3, v1, vcc
	v_mad_u64_u32 v[0:1], s[34:35], s41, v0, 0
	v_lshlrev_b64 v[0:1], 2, v[0:1]
	v_add_co_u32_e32 v24, vcc, s36, v0
	v_add_u32_e32 v0, s56, v6
	v_addc_co_u32_e32 v25, vcc, v3, v1, vcc
	v_mad_u64_u32 v[0:1], s[34:35], s41, v0, 0
	v_lshlrev_b64 v[0:1], 2, v[0:1]
	;; [unrolled: 5-line block ×3, first 2 shown]
	v_add_co_u32_e32 v28, vcc, s36, v0
	v_addc_co_u32_e32 v29, vcc, v3, v1, vcc
	v_mad_u64_u32 v[0:1], s[34:35], s41, v2, 0
	v_lshlrev_b64 v[0:1], 2, v[0:1]
	v_mov_b32_e32 v72, 0
	v_mov_b32_e32 v2, s37
	v_add_co_u32_e32 v30, vcc, s36, v0
	v_cmp_gt_u32_e64 s[14:15], s40, v11
	v_cmp_gt_u32_e64 s[28:29], s42, v8
	s_mov_b32 s58, 0
	v_addc_co_u32_e32 v31, vcc, v2, v1, vcc
	s_mov_b32 s41, 0x7f800000
	s_movk_i32 s59, 0x3ff
	s_mov_b32 s60, 0x7fc000
	s_brev_b32 s61, 1
	s_movk_i32 s62, 0x80
	v_mov_b32_e32 v33, 0
	v_mov_b32_e32 v32, v72
	;; [unrolled: 1-line block ×16, first 2 shown]
	v_or_b32_e32 v73, 0x2000, v56
	v_or_b32_e32 v74, 0x2000, v58
	;; [unrolled: 1-line block ×4, first 2 shown]
	v_add_u32_e32 v77, 0x2000, v65
	v_add_u32_e32 v78, 0x2000, v67
	;; [unrolled: 1-line block ×3, first 2 shown]
	v_mov_b32_e32 v80, 13
	v_lshlrev_b32_e32 v34, 2, v54
	s_branch .LBB34_3
.LBB34_2:                               ;   in Loop: Header=BB34_3 Depth=1
	s_or_b64 exec, exec, s[34:35]
	s_waitcnt vmcnt(0)
	ds_write_b32 v69, v0
	s_waitcnt lgkmcnt(0)
	s_barrier
	ds_read_b128 v[0:3], v71
	ds_read_b128 v[46:49], v70
	ds_read_b128 v[4:7], v70 offset:256
	ds_read_b128 v[8:11], v71 offset:256
	v_add_co_u32_e32 v16, vcc, s62, v16
	s_waitcnt lgkmcnt(2)
	v_fmac_f32_e32 v44, v46, v0
	v_fmac_f32_e32 v45, v46, v1
	;; [unrolled: 1-line block ×4, first 2 shown]
	v_mov_b32_e32 v46, v49
	v_fmac_f32_e32 v40, v47, v0
	v_fmac_f32_e32 v41, v47, v1
	v_fmac_f32_e32 v36, v47, v2
	v_fmac_f32_e32 v37, v47, v3
	v_fmac_f32_e32 v38, v48, v0
	v_fmac_f32_e32 v39, v48, v1
	v_pk_fma_f32 v[0:1], v[46:47], v[0:1], v[14:15] op_sel_hi:[0,1,1]
	v_pk_fma_f32 v[82:83], v[46:47], v[2:3], v[12:13] op_sel_hi:[0,1,1]
	ds_read_b128 v[12:15], v71 offset:512
	v_fmac_f32_e32 v32, v48, v2
	v_fmac_f32_e32 v33, v48, v3
	s_waitcnt lgkmcnt(1)
	v_fmac_f32_e32 v44, v4, v8
	v_fmac_f32_e32 v45, v4, v9
	;; [unrolled: 1-line block ×4, first 2 shown]
	v_mov_b32_e32 v50, v7
	v_fmac_f32_e32 v42, v4, v10
	v_fmac_f32_e32 v43, v4, v11
	;; [unrolled: 1-line block ×4, first 2 shown]
	ds_read_b128 v[2:5], v70 offset:512
	ds_read_b128 v[46:49], v70 offset:768
	v_fmac_f32_e32 v38, v6, v8
	v_fmac_f32_e32 v39, v6, v9
	;; [unrolled: 1-line block ×4, first 2 shown]
	v_pk_fma_f32 v[0:1], v[50:51], v[8:9], v[0:1] op_sel_hi:[0,1,1]
	ds_read_b128 v[6:9], v71 offset:768
	v_pk_fma_f32 v[10:11], v[50:51], v[10:11], v[82:83] op_sel_hi:[0,1,1]
	s_waitcnt lgkmcnt(2)
	v_fmac_f32_e32 v44, v2, v12
	v_fmac_f32_e32 v45, v2, v13
	;; [unrolled: 1-line block ×4, first 2 shown]
	v_mov_b32_e32 v2, v5
	v_fmac_f32_e32 v40, v3, v12
	v_fmac_f32_e32 v41, v3, v13
	;; [unrolled: 1-line block ×8, first 2 shown]
	v_pk_fma_f32 v[4:5], v[2:3], v[12:13], v[0:1] op_sel_hi:[0,1,1]
	v_pk_fma_f32 v[14:15], v[2:3], v[14:15], v[10:11] op_sel_hi:[0,1,1]
	ds_read_b128 v[0:3], v71 offset:1024
	s_waitcnt lgkmcnt(1)
	v_fmac_f32_e32 v44, v46, v6
	v_fmac_f32_e32 v45, v46, v7
	;; [unrolled: 1-line block ×6, first 2 shown]
	v_mov_b32_e32 v50, v49
	v_fmac_f32_e32 v42, v46, v8
	v_fmac_f32_e32 v43, v46, v9
	;; [unrolled: 1-line block ×6, first 2 shown]
	ds_read_b128 v[10:13], v70 offset:1024
	ds_read_b128 v[46:49], v70 offset:1280
	v_pk_fma_f32 v[82:83], v[50:51], v[6:7], v[4:5] op_sel_hi:[0,1,1]
	ds_read_b128 v[4:7], v71 offset:1280
	v_pk_fma_f32 v[8:9], v[50:51], v[8:9], v[14:15] op_sel_hi:[0,1,1]
	s_waitcnt lgkmcnt(2)
	v_fmac_f32_e32 v44, v10, v0
	v_fmac_f32_e32 v45, v10, v1
	;; [unrolled: 1-line block ×4, first 2 shown]
	v_mov_b32_e32 v10, v13
	v_fmac_f32_e32 v40, v11, v0
	v_fmac_f32_e32 v41, v11, v1
	;; [unrolled: 1-line block ×8, first 2 shown]
	v_pk_fma_f32 v[82:83], v[10:11], v[0:1], v[82:83] op_sel_hi:[0,1,1]
	v_pk_fma_f32 v[84:85], v[10:11], v[2:3], v[8:9] op_sel_hi:[0,1,1]
	ds_read_b128 v[0:3], v71 offset:1536
	s_waitcnt lgkmcnt(2)
	v_mov_b32_e32 v50, v49
	ds_read_b128 v[8:11], v70 offset:1536
	ds_read_b128 v[12:15], v70 offset:1792
	s_waitcnt lgkmcnt(3)
	v_fmac_f32_e32 v44, v46, v4
	v_fmac_f32_e32 v45, v46, v5
	;; [unrolled: 1-line block ×12, first 2 shown]
	v_pk_fma_f32 v[46:47], v[50:51], v[4:5], v[82:83] op_sel_hi:[0,1,1]
	v_pk_fma_f32 v[48:49], v[50:51], v[6:7], v[84:85] op_sel_hi:[0,1,1]
	ds_read_b128 v[4:7], v71 offset:1792
	s_waitcnt lgkmcnt(2)
	v_fmac_f32_e32 v44, v8, v0
	v_fmac_f32_e32 v45, v8, v1
	;; [unrolled: 1-line block ×4, first 2 shown]
	v_mov_b32_e32 v8, v11
	v_fmac_f32_e32 v40, v9, v0
	v_fmac_f32_e32 v41, v9, v1
	;; [unrolled: 1-line block ×8, first 2 shown]
	v_pk_fma_f32 v[46:47], v[8:9], v[0:1], v[46:47] op_sel_hi:[0,1,1]
	v_pk_fma_f32 v[48:49], v[8:9], v[2:3], v[48:49] op_sel_hi:[0,1,1]
	ds_read_b128 v[0:3], v71 offset:2048
	s_waitcnt lgkmcnt(2)
	v_mov_b32_e32 v50, v15
	ds_read_b128 v[8:11], v70 offset:2048
	ds_read_b128 v[82:85], v70 offset:2304
	s_waitcnt lgkmcnt(3)
	v_fmac_f32_e32 v44, v12, v4
	v_fmac_f32_e32 v45, v12, v5
	;; [unrolled: 1-line block ×12, first 2 shown]
	v_pk_fma_f32 v[12:13], v[50:51], v[4:5], v[46:47] op_sel_hi:[0,1,1]
	v_pk_fma_f32 v[14:15], v[50:51], v[6:7], v[48:49] op_sel_hi:[0,1,1]
	ds_read_b128 v[4:7], v71 offset:2304
	s_waitcnt lgkmcnt(2)
	v_mov_b32_e32 v46, v11
	v_fmac_f32_e32 v44, v8, v0
	v_fmac_f32_e32 v45, v8, v1
	;; [unrolled: 1-line block ×6, first 2 shown]
	v_pk_fma_f32 v[0:1], v[46:47], v[0:1], v[12:13] op_sel_hi:[0,1,1]
	v_fmac_f32_e32 v42, v8, v2
	v_fmac_f32_e32 v43, v8, v3
	s_waitcnt lgkmcnt(1)
	v_mov_b32_e32 v8, v85
	s_waitcnt lgkmcnt(0)
	v_fmac_f32_e32 v44, v82, v4
	v_fmac_f32_e32 v45, v82, v5
	;; [unrolled: 1-line block ×10, first 2 shown]
	v_pk_fma_f32 v[48:49], v[8:9], v[4:5], v[0:1] op_sel_hi:[0,1,1]
	v_pk_fma_f32 v[4:5], v[46:47], v[2:3], v[14:15] op_sel_hi:[0,1,1]
	ds_read_b128 v[12:15], v70 offset:2560
	ds_read_b128 v[0:3], v71 offset:2560
	v_fmac_f32_e32 v42, v82, v6
	v_fmac_f32_e32 v43, v82, v7
	;; [unrolled: 1-line block ×6, first 2 shown]
	v_pk_fma_f32 v[46:47], v[8:9], v[6:7], v[4:5] op_sel_hi:[0,1,1]
	ds_read_b128 v[8:11], v71 offset:2816
	ds_read_b128 v[4:7], v70 offset:2816
	s_waitcnt lgkmcnt(3)
	v_mov_b32_e32 v50, v15
	s_waitcnt lgkmcnt(2)
	v_pk_fma_f32 v[38:39], v[14:15], v[0:1], v[38:39] op_sel_hi:[0,1,1]
	v_pk_fma_f32 v[44:45], v[12:13], v[0:1], v[44:45] op_sel_hi:[0,1,1]
	v_pk_fma_f32 v[40:41], v[12:13], v[0:1], v[40:41] op_sel:[1,0,0]
	v_pk_fma_f32 v[14:15], v[14:15], v[2:3], v[32:33] op_sel_hi:[0,1,1]
	v_pk_fma_f32 v[32:33], v[12:13], v[2:3], v[42:43] op_sel_hi:[0,1,1]
	v_pk_fma_f32 v[12:13], v[12:13], v[2:3], v[36:37] op_sel:[1,0,0]
	s_waitcnt lgkmcnt(0)
	v_pk_fma_f32 v[36:37], v[6:7], v[8:9], v[38:39] op_sel_hi:[0,1,1]
	v_pk_fma_f32 v[38:39], v[50:51], v[0:1], v[48:49] op_sel_hi:[0,1,1]
	;; [unrolled: 1-line block ×3, first 2 shown]
	ds_read_b128 v[0:3], v71 offset:3072
	v_pk_fma_f32 v[44:45], v[4:5], v[8:9], v[44:45] op_sel_hi:[0,1,1]
	v_pk_fma_f32 v[40:41], v[4:5], v[8:9], v[40:41] op_sel:[1,0,0]
	v_pk_fma_f32 v[46:47], v[6:7], v[10:11], v[14:15] op_sel_hi:[0,1,1]
	v_pk_fma_f32 v[32:33], v[4:5], v[10:11], v[32:33] op_sel_hi:[0,1,1]
	v_pk_fma_f32 v[48:49], v[4:5], v[10:11], v[12:13] op_sel:[1,0,0]
	v_mov_b32_e32 v50, v7
	ds_read_b128 v[4:7], v70 offset:3072
	ds_read_b128 v[12:15], v70 offset:3328
	v_pk_fma_f32 v[38:39], v[50:51], v[8:9], v[38:39] op_sel_hi:[0,1,1]
	v_pk_fma_f32 v[42:43], v[50:51], v[10:11], v[42:43] op_sel_hi:[0,1,1]
	ds_read_b128 v[8:11], v71 offset:3328
	s_waitcnt lgkmcnt(2)
	v_pk_fma_f32 v[36:37], v[6:7], v[0:1], v[36:37] op_sel_hi:[0,1,1]
	v_pk_fma_f32 v[46:47], v[6:7], v[2:3], v[46:47] op_sel_hi:[0,1,1]
	v_mov_b32_e32 v6, v7
	v_pk_fma_f32 v[44:45], v[4:5], v[0:1], v[44:45] op_sel_hi:[0,1,1]
	v_pk_fma_f32 v[40:41], v[4:5], v[0:1], v[40:41] op_sel:[1,0,0]
	v_pk_fma_f32 v[32:33], v[4:5], v[2:3], v[32:33] op_sel_hi:[0,1,1]
	v_pk_fma_f32 v[4:5], v[4:5], v[2:3], v[48:49] op_sel:[1,0,0]
	v_pk_fma_f32 v[38:39], v[6:7], v[0:1], v[38:39] op_sel_hi:[0,1,1]
	v_pk_fma_f32 v[42:43], v[6:7], v[2:3], v[42:43] op_sel_hi:[0,1,1]
	ds_read_b128 v[0:3], v71 offset:3584
	s_waitcnt lgkmcnt(1)
	v_pk_fma_f32 v[36:37], v[14:15], v[8:9], v[36:37] op_sel_hi:[0,1,1]
	v_pk_fma_f32 v[44:45], v[12:13], v[8:9], v[44:45] op_sel_hi:[0,1,1]
	v_pk_fma_f32 v[40:41], v[12:13], v[8:9], v[40:41] op_sel:[1,0,0]
	v_pk_fma_f32 v[46:47], v[14:15], v[10:11], v[46:47] op_sel_hi:[0,1,1]
	v_pk_fma_f32 v[32:33], v[12:13], v[10:11], v[32:33] op_sel_hi:[0,1,1]
	v_pk_fma_f32 v[48:49], v[12:13], v[10:11], v[4:5] op_sel:[1,0,0]
	v_mov_b32_e32 v50, v15
	ds_read_b128 v[4:7], v70 offset:3584
	ds_read_b128 v[12:15], v70 offset:3840
	v_pk_fma_f32 v[38:39], v[50:51], v[8:9], v[38:39] op_sel_hi:[0,1,1]
	v_pk_fma_f32 v[42:43], v[50:51], v[10:11], v[42:43] op_sel_hi:[0,1,1]
	ds_read_b128 v[8:11], v71 offset:3840
	s_waitcnt lgkmcnt(2)
	v_pk_fma_f32 v[36:37], v[6:7], v[0:1], v[36:37] op_sel_hi:[0,1,1]
	v_pk_fma_f32 v[46:47], v[6:7], v[2:3], v[46:47] op_sel_hi:[0,1,1]
	v_mov_b32_e32 v6, v7
	v_pk_fma_f32 v[44:45], v[4:5], v[0:1], v[44:45] op_sel_hi:[0,1,1]
	v_pk_fma_f32 v[40:41], v[4:5], v[0:1], v[40:41] op_sel:[1,0,0]
	v_pk_fma_f32 v[32:33], v[4:5], v[2:3], v[32:33] op_sel_hi:[0,1,1]
	v_pk_fma_f32 v[4:5], v[4:5], v[2:3], v[48:49] op_sel:[1,0,0]
	s_waitcnt lgkmcnt(1)
	v_mov_b32_e32 v50, v15
	v_pk_fma_f32 v[38:39], v[6:7], v[0:1], v[38:39] op_sel_hi:[0,1,1]
	v_pk_fma_f32 v[42:43], v[6:7], v[2:3], v[42:43] op_sel_hi:[0,1,1]
	s_waitcnt lgkmcnt(0)
	v_pk_fma_f32 v[36:37], v[14:15], v[8:9], v[36:37] op_sel_hi:[0,1,1]
	v_pk_fma_f32 v[44:45], v[12:13], v[8:9], v[44:45] op_sel_hi:[0,1,1]
	v_pk_fma_f32 v[40:41], v[12:13], v[8:9], v[40:41] op_sel:[1,0,0]
	v_pk_fma_f32 v[46:47], v[14:15], v[10:11], v[46:47] op_sel_hi:[0,1,1]
	v_pk_fma_f32 v[32:33], v[12:13], v[10:11], v[32:33] op_sel_hi:[0,1,1]
	v_pk_fma_f32 v[48:49], v[12:13], v[10:11], v[4:5] op_sel:[1,0,0]
	ds_read_b128 v[0:3], v71 offset:4096
	ds_read_b128 v[4:7], v70 offset:4096
	;; [unrolled: 1-line block ×3, first 2 shown]
	v_pk_fma_f32 v[38:39], v[50:51], v[8:9], v[38:39] op_sel_hi:[0,1,1]
	v_pk_fma_f32 v[42:43], v[50:51], v[10:11], v[42:43] op_sel_hi:[0,1,1]
	ds_read_b128 v[8:11], v71 offset:4352
	s_waitcnt lgkmcnt(2)
	v_pk_fma_f32 v[36:37], v[6:7], v[0:1], v[36:37] op_sel_hi:[0,1,1]
	v_pk_fma_f32 v[44:45], v[4:5], v[0:1], v[44:45] op_sel_hi:[0,1,1]
	v_pk_fma_f32 v[40:41], v[4:5], v[0:1], v[40:41] op_sel:[1,0,0]
	v_pk_fma_f32 v[32:33], v[4:5], v[2:3], v[32:33] op_sel_hi:[0,1,1]
	v_pk_fma_f32 v[48:49], v[4:5], v[2:3], v[48:49] op_sel:[1,0,0]
	v_mov_b32_e32 v4, v7
	v_pk_fma_f32 v[46:47], v[6:7], v[2:3], v[46:47] op_sel_hi:[0,1,1]
	v_pk_fma_f32 v[82:83], v[4:5], v[0:1], v[38:39] op_sel_hi:[0,1,1]
	;; [unrolled: 1-line block ×3, first 2 shown]
	ds_read_b128 v[0:3], v70 offset:4608
	ds_read_b128 v[4:7], v70 offset:4864
	s_waitcnt lgkmcnt(2)
	v_pk_fma_f32 v[86:87], v[14:15], v[8:9], v[36:37] op_sel_hi:[0,1,1]
	v_pk_fma_f32 v[88:89], v[12:13], v[8:9], v[40:41] op_sel:[1,0,0]
	ds_read_b128 v[36:39], v71 offset:4608
	ds_read_b128 v[40:43], v71 offset:4864
	v_pk_fma_f32 v[46:47], v[14:15], v[10:11], v[46:47] op_sel_hi:[0,1,1]
	v_mov_b32_e32 v14, v15
	v_pk_fma_f32 v[44:45], v[12:13], v[8:9], v[44:45] op_sel_hi:[0,1,1]
	v_pk_fma_f32 v[32:33], v[12:13], v[10:11], v[32:33] op_sel_hi:[0,1,1]
	v_pk_fma_f32 v[12:13], v[12:13], v[10:11], v[48:49] op_sel:[1,0,0]
	v_pk_fma_f32 v[8:9], v[14:15], v[8:9], v[82:83] op_sel_hi:[0,1,1]
	v_pk_fma_f32 v[10:11], v[14:15], v[10:11], v[84:85] op_sel_hi:[0,1,1]
	s_waitcnt lgkmcnt(1)
	v_pk_fma_f32 v[14:15], v[2:3], v[36:37], v[86:87] op_sel_hi:[0,1,1]
	s_waitcnt lgkmcnt(0)
	v_pk_fma_f32 v[48:49], v[6:7], v[40:41], v[14:15] op_sel_hi:[0,1,1]
	v_pk_fma_f32 v[14:15], v[0:1], v[36:37], v[44:45] op_sel_hi:[0,1,1]
	v_pk_fma_f32 v[44:45], v[0:1], v[36:37], v[88:89] op_sel:[1,0,0]
	v_pk_fma_f32 v[46:47], v[2:3], v[38:39], v[46:47] op_sel_hi:[0,1,1]
	v_pk_fma_f32 v[32:33], v[0:1], v[38:39], v[32:33] op_sel_hi:[0,1,1]
	v_pk_fma_f32 v[12:13], v[0:1], v[38:39], v[12:13] op_sel:[1,0,0]
	v_mov_b32_e32 v50, v3
	ds_read_b128 v[0:3], v71 offset:5120
	v_pk_fma_f32 v[82:83], v[4:5], v[40:41], v[14:15] op_sel_hi:[0,1,1]
	v_pk_fma_f32 v[8:9], v[50:51], v[36:37], v[8:9] op_sel_hi:[0,1,1]
	;; [unrolled: 1-line block ×3, first 2 shown]
	v_pk_fma_f32 v[36:37], v[4:5], v[40:41], v[44:45] op_sel:[1,0,0]
	v_pk_fma_f32 v[44:45], v[6:7], v[42:43], v[46:47] op_sel_hi:[0,1,1]
	v_pk_fma_f32 v[32:33], v[4:5], v[42:43], v[32:33] op_sel_hi:[0,1,1]
	v_pk_fma_f32 v[38:39], v[4:5], v[42:43], v[12:13] op_sel:[1,0,0]
	v_mov_b32_e32 v46, v7
	ds_read_b128 v[12:15], v70 offset:5120
	ds_read_b128 v[4:7], v70 offset:5376
	v_pk_fma_f32 v[84:85], v[46:47], v[40:41], v[8:9] op_sel_hi:[0,1,1]
	v_pk_fma_f32 v[46:47], v[46:47], v[42:43], v[10:11] op_sel_hi:[0,1,1]
	ds_read_b128 v[8:11], v71 offset:5376
	s_waitcnt lgkmcnt(2)
	v_pk_fma_f32 v[42:43], v[14:15], v[0:1], v[48:49] op_sel_hi:[0,1,1]
	v_pk_fma_f32 v[40:41], v[12:13], v[2:3], v[32:33] op_sel_hi:[0,1,1]
	;; [unrolled: 1-line block ×3, first 2 shown]
	v_mov_b32_e32 v14, v15
	v_pk_fma_f32 v[82:83], v[12:13], v[0:1], v[82:83] op_sel_hi:[0,1,1]
	v_pk_fma_f32 v[86:87], v[12:13], v[0:1], v[36:37] op_sel:[1,0,0]
	v_pk_fma_f32 v[38:39], v[12:13], v[2:3], v[38:39] op_sel:[1,0,0]
	v_pk_fma_f32 v[12:13], v[14:15], v[0:1], v[84:85] op_sel_hi:[0,1,1]
	v_pk_fma_f32 v[14:15], v[14:15], v[2:3], v[46:47] op_sel_hi:[0,1,1]
	ds_read_b128 v[0:3], v71 offset:5632
	s_waitcnt lgkmcnt(2)
	v_mov_b32_e32 v36, v7
	s_waitcnt lgkmcnt(1)
	v_pk_fma_f32 v[44:45], v[4:5], v[8:9], v[82:83] op_sel_hi:[0,1,1]
	v_pk_fma_f32 v[46:47], v[4:5], v[8:9], v[86:87] op_sel:[1,0,0]
	v_pk_fma_f32 v[42:43], v[6:7], v[8:9], v[42:43] op_sel_hi:[0,1,1]
	v_pk_fma_f32 v[48:49], v[4:5], v[10:11], v[40:41] op_sel_hi:[0,1,1]
	v_pk_fma_f32 v[82:83], v[4:5], v[10:11], v[38:39] op_sel:[1,0,0]
	v_pk_fma_f32 v[32:33], v[6:7], v[10:11], v[32:33] op_sel_hi:[0,1,1]
	ds_read_b128 v[4:7], v70 offset:5632
	ds_read_b128 v[38:41], v70 offset:5888
	v_pk_fma_f32 v[12:13], v[36:37], v[8:9], v[12:13] op_sel_hi:[0,1,1]
	v_pk_fma_f32 v[14:15], v[36:37], v[10:11], v[14:15] op_sel_hi:[0,1,1]
	ds_read_b128 v[8:11], v71 offset:5888
	s_waitcnt lgkmcnt(2)
	v_pk_fma_f32 v[42:43], v[6:7], v[0:1], v[42:43] op_sel_hi:[0,1,1]
	v_pk_fma_f32 v[32:33], v[6:7], v[2:3], v[32:33] op_sel_hi:[0,1,1]
	v_mov_b32_e32 v6, v7
	v_pk_fma_f32 v[36:37], v[4:5], v[0:1], v[44:45] op_sel_hi:[0,1,1]
	v_pk_fma_f32 v[44:45], v[4:5], v[0:1], v[46:47] op_sel:[1,0,0]
	v_pk_fma_f32 v[46:47], v[4:5], v[2:3], v[48:49] op_sel_hi:[0,1,1]
	v_pk_fma_f32 v[4:5], v[4:5], v[2:3], v[82:83] op_sel:[1,0,0]
	v_pk_fma_f32 v[48:49], v[6:7], v[0:1], v[12:13] op_sel_hi:[0,1,1]
	v_pk_fma_f32 v[82:83], v[6:7], v[2:3], v[14:15] op_sel_hi:[0,1,1]
	ds_read_b128 v[0:3], v71 offset:6144
	s_waitcnt lgkmcnt(2)
	v_mov_b32_e32 v50, v41
	s_waitcnt lgkmcnt(1)
	v_pk_fma_f32 v[36:37], v[38:39], v[8:9], v[36:37] op_sel_hi:[0,1,1]
	v_pk_fma_f32 v[44:45], v[38:39], v[8:9], v[44:45] op_sel:[1,0,0]
	v_pk_fma_f32 v[46:47], v[38:39], v[10:11], v[46:47] op_sel_hi:[0,1,1]
	v_pk_fma_f32 v[38:39], v[38:39], v[10:11], v[4:5] op_sel:[1,0,0]
	ds_read_b128 v[4:7], v70 offset:6144
	ds_read_b128 v[12:15], v70 offset:6400
	v_pk_fma_f32 v[42:43], v[40:41], v[8:9], v[42:43] op_sel_hi:[0,1,1]
	v_pk_fma_f32 v[32:33], v[40:41], v[10:11], v[32:33] op_sel_hi:[0,1,1]
	;; [unrolled: 1-line block ×4, first 2 shown]
	ds_read_b128 v[8:11], v71 offset:6400
	s_waitcnt lgkmcnt(2)
	v_pk_fma_f32 v[42:43], v[6:7], v[0:1], v[42:43] op_sel_hi:[0,1,1]
	v_pk_fma_f32 v[32:33], v[6:7], v[2:3], v[32:33] op_sel_hi:[0,1,1]
	v_mov_b32_e32 v6, v7
	v_pk_fma_f32 v[36:37], v[4:5], v[0:1], v[36:37] op_sel_hi:[0,1,1]
	v_pk_fma_f32 v[44:45], v[4:5], v[0:1], v[44:45] op_sel:[1,0,0]
	v_pk_fma_f32 v[46:47], v[4:5], v[2:3], v[46:47] op_sel_hi:[0,1,1]
	v_pk_fma_f32 v[4:5], v[4:5], v[2:3], v[38:39] op_sel:[1,0,0]
	v_pk_fma_f32 v[38:39], v[6:7], v[0:1], v[40:41] op_sel_hi:[0,1,1]
	v_pk_fma_f32 v[40:41], v[6:7], v[2:3], v[48:49] op_sel_hi:[0,1,1]
	ds_read_b128 v[0:3], v71 offset:6656
	s_waitcnt lgkmcnt(2)
	v_mov_b32_e32 v48, v15
	s_waitcnt lgkmcnt(1)
	v_pk_fma_f32 v[36:37], v[12:13], v[8:9], v[36:37] op_sel_hi:[0,1,1]
	v_pk_fma_f32 v[44:45], v[12:13], v[8:9], v[44:45] op_sel:[1,0,0]
	v_pk_fma_f32 v[42:43], v[14:15], v[8:9], v[42:43] op_sel_hi:[0,1,1]
	v_pk_fma_f32 v[46:47], v[12:13], v[10:11], v[46:47] op_sel_hi:[0,1,1]
	v_pk_fma_f32 v[82:83], v[12:13], v[10:11], v[4:5] op_sel:[1,0,0]
	v_pk_fma_f32 v[32:33], v[14:15], v[10:11], v[32:33] op_sel_hi:[0,1,1]
	ds_read_b128 v[4:7], v70 offset:6656
	ds_read_b128 v[12:15], v70 offset:6912
	v_pk_fma_f32 v[38:39], v[48:49], v[8:9], v[38:39] op_sel_hi:[0,1,1]
	v_pk_fma_f32 v[40:41], v[48:49], v[10:11], v[40:41] op_sel_hi:[0,1,1]
	ds_read_b128 v[8:11], v71 offset:6912
	s_waitcnt lgkmcnt(2)
	v_pk_fma_f32 v[42:43], v[6:7], v[0:1], v[42:43] op_sel_hi:[0,1,1]
	v_pk_fma_f32 v[32:33], v[6:7], v[2:3], v[32:33] op_sel_hi:[0,1,1]
	v_mov_b32_e32 v6, v7
	v_pk_fma_f32 v[36:37], v[4:5], v[0:1], v[36:37] op_sel_hi:[0,1,1]
	v_pk_fma_f32 v[44:45], v[4:5], v[0:1], v[44:45] op_sel:[1,0,0]
	v_pk_fma_f32 v[46:47], v[4:5], v[2:3], v[46:47] op_sel_hi:[0,1,1]
	v_pk_fma_f32 v[4:5], v[4:5], v[2:3], v[82:83] op_sel:[1,0,0]
	v_pk_fma_f32 v[38:39], v[6:7], v[0:1], v[38:39] op_sel_hi:[0,1,1]
	v_pk_fma_f32 v[40:41], v[6:7], v[2:3], v[40:41] op_sel_hi:[0,1,1]
	ds_read_b128 v[0:3], v71 offset:7168
	s_waitcnt lgkmcnt(2)
	v_mov_b32_e32 v48, v15
	s_waitcnt lgkmcnt(1)
	v_pk_fma_f32 v[36:37], v[12:13], v[8:9], v[36:37] op_sel_hi:[0,1,1]
	v_pk_fma_f32 v[44:45], v[12:13], v[8:9], v[44:45] op_sel:[1,0,0]
	v_pk_fma_f32 v[42:43], v[14:15], v[8:9], v[42:43] op_sel_hi:[0,1,1]
	v_pk_fma_f32 v[46:47], v[12:13], v[10:11], v[46:47] op_sel_hi:[0,1,1]
	v_pk_fma_f32 v[82:83], v[12:13], v[10:11], v[4:5] op_sel:[1,0,0]
	v_pk_fma_f32 v[32:33], v[14:15], v[10:11], v[32:33] op_sel_hi:[0,1,1]
	ds_read_b128 v[4:7], v70 offset:7168
	ds_read_b128 v[12:15], v70 offset:7424
	v_pk_fma_f32 v[38:39], v[48:49], v[8:9], v[38:39] op_sel_hi:[0,1,1]
	v_pk_fma_f32 v[40:41], v[48:49], v[10:11], v[40:41] op_sel_hi:[0,1,1]
	ds_read_b128 v[8:11], v71 offset:7424
	v_addc_co_u32_e32 v17, vcc, 0, v17, vcc
	v_add_co_u32_e32 v18, vcc, s62, v18
	v_addc_co_u32_e32 v19, vcc, 0, v19, vcc
	s_waitcnt lgkmcnt(2)
	v_pk_fma_f32 v[36:37], v[4:5], v[0:1], v[36:37] op_sel_hi:[0,1,1]
	v_pk_fma_f32 v[44:45], v[4:5], v[0:1], v[44:45] op_sel:[1,0,0]
	v_pk_fma_f32 v[46:47], v[4:5], v[2:3], v[46:47] op_sel_hi:[0,1,1]
	v_pk_fma_f32 v[48:49], v[4:5], v[2:3], v[82:83] op_sel:[1,0,0]
	v_mov_b32_e32 v4, v7
	v_add_co_u32_e32 v20, vcc, s62, v20
	v_pk_fma_f32 v[42:43], v[6:7], v[0:1], v[42:43] op_sel_hi:[0,1,1]
	v_pk_fma_f32 v[32:33], v[6:7], v[2:3], v[32:33] op_sel_hi:[0,1,1]
	;; [unrolled: 1-line block ×4, first 2 shown]
	ds_read_b128 v[0:3], v70 offset:7680
	ds_read_b128 v[4:7], v70 offset:7936
	s_waitcnt lgkmcnt(2)
	v_pk_fma_f32 v[36:37], v[12:13], v[8:9], v[36:37] op_sel_hi:[0,1,1]
	v_pk_fma_f32 v[86:87], v[12:13], v[8:9], v[44:45] op_sel:[1,0,0]
	v_pk_fma_f32 v[88:89], v[12:13], v[10:11], v[46:47] op_sel_hi:[0,1,1]
	v_pk_fma_f32 v[12:13], v[12:13], v[10:11], v[48:49] op_sel:[1,0,0]
	ds_read_b128 v[46:49], v71 offset:7680
	ds_read_b128 v[82:85], v71 offset:7936
	v_addc_co_u32_e32 v21, vcc, 0, v21, vcc
	v_add_co_u32_e32 v22, vcc, s62, v22
	v_addc_co_u32_e32 v23, vcc, 0, v23, vcc
	v_add_co_u32_e32 v24, vcc, s62, v24
	v_addc_co_u32_e32 v25, vcc, 0, v25, vcc
	v_mov_b32_e32 v50, v15
	s_waitcnt lgkmcnt(1)
	v_pk_fma_f32 v[36:37], v[0:1], v[46:47], v[36:37] op_sel_hi:[0,1,1]
	v_add_co_u32_e32 v26, vcc, 0x80, v26
	v_pk_fma_f32 v[42:43], v[14:15], v[8:9], v[42:43] op_sel_hi:[0,1,1]
	v_pk_fma_f32 v[32:33], v[14:15], v[10:11], v[32:33] op_sel_hi:[0,1,1]
	;; [unrolled: 1-line block ×3, first 2 shown]
	v_mov_b32_e32 v14, v3
	s_waitcnt lgkmcnt(0)
	v_pk_fma_f32 v[44:45], v[4:5], v[82:83], v[36:37] op_sel_hi:[0,1,1]
	v_pk_fma_f32 v[36:37], v[0:1], v[46:47], v[86:87] op_sel:[1,0,0]
	v_addc_co_u32_e32 v27, vcc, 0, v27, vcc
	v_pk_fma_f32 v[10:11], v[50:51], v[10:11], v[40:41] op_sel_hi:[0,1,1]
	v_pk_fma_f32 v[8:9], v[14:15], v[46:47], v[8:9] op_sel_hi:[0,1,1]
	v_pk_fma_f32 v[40:41], v[4:5], v[82:83], v[36:37] op_sel:[1,0,0]
	v_pk_fma_f32 v[36:37], v[2:3], v[46:47], v[42:43] op_sel_hi:[0,1,1]
	v_mov_b32_e32 v46, v7
	v_add_co_u32_e32 v28, vcc, 0x80, v28
	v_pk_fma_f32 v[10:11], v[14:15], v[48:49], v[10:11] op_sel_hi:[0,1,1]
	v_pk_fma_f32 v[14:15], v[46:47], v[82:83], v[8:9] op_sel_hi:[0,1,1]
	;; [unrolled: 1-line block ×3, first 2 shown]
	v_pk_fma_f32 v[0:1], v[0:1], v[48:49], v[12:13] op_sel:[1,0,0]
	v_addc_co_u32_e32 v29, vcc, 0, v29, vcc
	v_pk_fma_f32 v[38:39], v[6:7], v[82:83], v[36:37] op_sel_hi:[0,1,1]
	v_pk_fma_f32 v[36:37], v[4:5], v[84:85], v[0:1] op_sel:[1,0,0]
	v_pk_fma_f32 v[0:1], v[2:3], v[48:49], v[32:33] op_sel_hi:[0,1,1]
	s_add_i32 s58, s58, 1
	v_add_co_u32_e32 v30, vcc, 0x80, v30
	v_pk_fma_f32 v[42:43], v[4:5], v[84:85], v[8:9] op_sel_hi:[0,1,1]
	v_pk_fma_f32 v[32:33], v[6:7], v[84:85], v[0:1] op_sel_hi:[0,1,1]
	;; [unrolled: 1-line block ×3, first 2 shown]
	s_cmp_eq_u32 s57, s58
	v_addc_co_u32_e32 v31, vcc, 0, v31, vcc
	s_barrier
	s_cbranch_scc1 .LBB34_244
.LBB34_3:                               ; =>This Inner Loop Header: Depth=1
	s_lshr_b32 s64, s58, 3
	s_and_b32 s63, s58, 7
	s_cmp_gt_u32 s63, 3
	s_cselect_b64 s[46:47], -1, 0
	s_lshl_b32 s34, s58, 4
	s_and_b32 s34, s34, 0x60
	s_bitcmp0_b32 s58, 0
	v_or_b32_e32 v4, s34, v54
	s_cselect_b64 s[34:35], -1, 0
	v_mov_b32_e32 v0, 0
	s_and_saveexec_b64 s[36:37], s[0:1]
	s_cbranch_execz .LBB34_31
; %bb.4:                                ;   in Loop: Header=BB34_3 Depth=1
	v_add_u32_e32 v1, s64, v55
	v_mov_b32_e32 v0, s43
	v_mad_u64_u32 v[0:1], s[50:51], v1, 36, v[0:1]
	v_mov_b32_e32 v1, v72
	v_lshlrev_b64 v[0:1], 2, v[0:1]
	v_mov_b32_e32 v2, s45
	v_add_co_u32_e32 v0, vcc, s44, v0
	v_addc_co_u32_e32 v1, vcc, v2, v1, vcc
	global_load_dword v2, v[0:1], off
	s_waitcnt vmcnt(0)
	v_bfe_u32 v3, v2, 15, 1
	v_bfe_u32 v6, v2, 10, 5
	v_cmp_lt_i32_e32 vcc, 30, v6
	v_lshlrev_b32_e32 v5, 31, v3
	s_and_saveexec_b64 s[50:51], vcc
	s_xor_b64 s[50:51], exec, s[50:51]
; %bb.5:                                ;   in Loop: Header=BB34_3 Depth=1
	v_lshlrev_b32_e32 v3, 31, v3
	v_lshlrev_b32_sdwa v5, v80, v2 dst_sel:DWORD dst_unused:UNUSED_PAD src0_sel:DWORD src1_sel:WORD_0
	v_or3_b32 v5, v3, v5, s41
                                        ; implicit-def: $vgpr6
                                        ; implicit-def: $vgpr3
; %bb.6:                                ;   in Loop: Header=BB34_3 Depth=1
	s_andn2_saveexec_b64 s[50:51], s[50:51]
	s_cbranch_execz .LBB34_14
; %bb.7:                                ;   in Loop: Header=BB34_3 Depth=1
	v_and_b32_e32 v7, 0x3ff, v2
	v_cmp_ne_u32_e32 vcc, 0, v6
	s_and_saveexec_b64 s[52:53], vcc
	s_xor_b64 s[52:53], exec, s[52:53]
; %bb.8:                                ;   in Loop: Header=BB34_3 Depth=1
	v_lshlrev_b32_e32 v3, 31, v3
	v_lshlrev_b32_e32 v5, 23, v6
	;; [unrolled: 1-line block ×3, first 2 shown]
	v_or3_b32 v3, v5, v3, v6
	v_add_u32_e32 v5, 0x38000000, v3
                                        ; implicit-def: $vgpr7
                                        ; implicit-def: $vgpr3
; %bb.9:                                ;   in Loop: Header=BB34_3 Depth=1
	s_andn2_saveexec_b64 s[52:53], s[52:53]
	s_cbranch_execz .LBB34_13
; %bb.10:                               ;   in Loop: Header=BB34_3 Depth=1
	v_cmp_ne_u32_e32 vcc, 0, v7
	s_and_saveexec_b64 s[54:55], vcc
	s_xor_b64 s[54:55], exec, s[54:55]
; %bb.11:                               ;   in Loop: Header=BB34_3 Depth=1
	v_ffbh_u32_e32 v5, v7
	v_xor_b32_e32 v6, 31, v5
	v_sub_u32_e32 v6, 9, v6
	v_lshlrev_b32_e32 v6, v6, v2
	v_lshlrev_b32_e32 v3, 31, v3
	;; [unrolled: 1-line block ×4, first 2 shown]
	v_and_or_b32 v3, v6, s60, v3
	v_sub_u32_e32 v3, v3, v5
	v_add_u32_e32 v5, 0x43000000, v3
; %bb.12:                               ;   in Loop: Header=BB34_3 Depth=1
	s_andn2_saveexec_b64 s[54:55], s[54:55]
	s_or_b64 exec, exec, s[54:55]
.LBB34_13:                              ;   in Loop: Header=BB34_3 Depth=1
	s_or_b64 exec, exec, s[52:53]
.LBB34_14:                              ;   in Loop: Header=BB34_3 Depth=1
	s_or_b64 exec, exec, s[50:51]
	v_bfe_u32 v7, v2, 26, 5
	v_cmp_lt_i32_e32 vcc, 30, v7
                                        ; implicit-def: $vgpr6
	s_and_saveexec_b64 s[50:51], vcc
	s_xor_b64 s[50:51], exec, s[50:51]
; %bb.15:                               ;   in Loop: Header=BB34_3 Depth=1
	v_and_b32_e32 v3, 0x80000000, v2
	v_lshlrev_b32_sdwa v2, v80, v2 dst_sel:DWORD dst_unused:UNUSED_PAD src0_sel:DWORD src1_sel:WORD_1
	v_or3_b32 v6, v2, v3, s41
                                        ; implicit-def: $vgpr2
                                        ; implicit-def: $vgpr7
; %bb.16:                               ;   in Loop: Header=BB34_3 Depth=1
	s_andn2_saveexec_b64 s[50:51], s[50:51]
	s_cbranch_execz .LBB34_26
; %bb.17:                               ;   in Loop: Header=BB34_3 Depth=1
	v_and_b32_sdwa v3, v2, s59 dst_sel:DWORD dst_unused:UNUSED_PAD src0_sel:WORD_1 src1_sel:DWORD
	v_cmp_ne_u32_e32 vcc, 0, v7
                                        ; implicit-def: $vgpr6
	s_and_saveexec_b64 s[52:53], vcc
	s_xor_b64 s[52:53], exec, s[52:53]
; %bb.18:                               ;   in Loop: Header=BB34_3 Depth=1
	v_and_b32_e32 v2, 0x80000000, v2
	v_lshlrev_b32_e32 v6, 23, v7
	v_lshlrev_b32_e32 v3, 13, v3
	v_or3_b32 v2, v6, v2, v3
	v_add_u32_e32 v6, 0x38000000, v2
                                        ; implicit-def: $vgpr2
                                        ; implicit-def: $vgpr3
; %bb.19:                               ;   in Loop: Header=BB34_3 Depth=1
	s_andn2_saveexec_b64 s[52:53], s[52:53]
	s_cbranch_execz .LBB34_25
; %bb.20:                               ;   in Loop: Header=BB34_3 Depth=1
	v_cmp_ne_u32_e32 vcc, 0, v3
                                        ; implicit-def: $vgpr6
	s_and_saveexec_b64 s[54:55], vcc
	s_xor_b64 s[54:55], exec, s[54:55]
; %bb.21:                               ;   in Loop: Header=BB34_3 Depth=1
	v_ffbh_u32_e32 v3, v3
	v_xor_b32_e32 v6, 31, v3
	v_sub_u32_e32 v6, 9, v6
	v_lshlrev_b32_sdwa v6, v6, v2 dst_sel:DWORD dst_unused:UNUSED_PAD src0_sel:DWORD src1_sel:WORD_1
	v_lshlrev_b32_e32 v6, 14, v6
	v_and_b32_e32 v6, 0x7fc000, v6
	v_lshlrev_b32_e32 v3, 23, v3
	v_and_or_b32 v2, v2, s61, v6
	v_sub_u32_e32 v2, v2, v3
	v_add_u32_e32 v6, 0x43000000, v2
                                        ; implicit-def: $vgpr2
; %bb.22:                               ;   in Loop: Header=BB34_3 Depth=1
	s_andn2_saveexec_b64 s[54:55], s[54:55]
; %bb.23:                               ;   in Loop: Header=BB34_3 Depth=1
	v_and_b32_e32 v6, 0x80000000, v2
; %bb.24:                               ;   in Loop: Header=BB34_3 Depth=1
	s_or_b64 exec, exec, s[54:55]
.LBB34_25:                              ;   in Loop: Header=BB34_3 Depth=1
	s_or_b64 exec, exec, s[52:53]
.LBB34_26:                              ;   in Loop: Header=BB34_3 Depth=1
	s_or_b64 exec, exec, s[50:51]
	v_add_co_u32_e32 v2, vcc, s63, v0
	v_addc_co_u32_e32 v3, vcc, 0, v1, vcc
	s_and_b64 vcc, exec, s[46:47]
	s_cbranch_vccz .LBB34_28
; %bb.27:                               ;   in Loop: Header=BB34_3 Depth=1
	global_load_ubyte v7, v[2:3], off offset:8
	global_load_ubyte v8, v[2:3], off
	global_load_ubyte v9, v[2:3], off offset:4
	s_waitcnt vmcnt(2)
	v_and_b32_e32 v10, 15, v7
	s_waitcnt vmcnt(1)
	v_lshrrev_b16_e32 v8, 2, v8
	s_waitcnt vmcnt(0)
	v_lshrrev_b16_e32 v9, 2, v9
	v_lshrrev_b16_e32 v7, 4, v7
	v_and_b32_e32 v8, 48, v8
	v_and_b32_e32 v9, 48, v9
	v_or_b32_e32 v8, v8, v10
	v_or_b32_e32 v7, v9, v7
	s_cbranch_execz .LBB34_29
	s_branch .LBB34_30
.LBB34_28:                              ;   in Loop: Header=BB34_3 Depth=1
                                        ; implicit-def: $vgpr7
                                        ; implicit-def: $vgpr8
.LBB34_29:                              ;   in Loop: Header=BB34_3 Depth=1
	global_load_ubyte v7, v[2:3], off offset:4
	s_nop 0
	global_load_ubyte v2, v[2:3], off offset:8
	s_waitcnt vmcnt(1)
	v_and_b32_e32 v8, 63, v7
	s_waitcnt vmcnt(0)
	v_and_b32_e32 v7, 63, v2
.LBB34_30:                              ;   in Loop: Header=BB34_3 Depth=1
	v_add_co_u32_e32 v0, vcc, v0, v4
	v_addc_co_u32_e32 v1, vcc, 0, v1, vcc
	global_load_ubyte v0, v[0:1], off offset:16
	v_cvt_f32_ubyte0_e32 v1, v8
	v_cvt_f32_ubyte0_e32 v2, v7
	v_mul_f32_e32 v1, v5, v1
	v_mul_f32_e32 v2, v6, v2
	s_waitcnt vmcnt(0)
	v_and_b32_e32 v3, 15, v0
	v_lshrrev_b32_e32 v0, 4, v0
	v_cndmask_b32_e64 v0, v0, v3, s[34:35]
	v_cvt_f32_ubyte0_e32 v0, v0
	v_fma_f32 v0, v1, v0, -v2
.LBB34_31:                              ;   in Loop: Header=BB34_3 Depth=1
	s_or_b64 exec, exec, s[36:37]
	ds_write_b32 v73, v0
	v_mov_b32_e32 v0, 0
	s_and_saveexec_b64 s[50:51], s[2:3]
	s_cbranch_execz .LBB34_59
; %bb.32:                               ;   in Loop: Header=BB34_3 Depth=1
	v_add_u32_e32 v1, s64, v57
	v_mov_b32_e32 v0, s43
	v_mad_u64_u32 v[0:1], s[36:37], v1, 36, v[0:1]
	v_mov_b32_e32 v1, v72
	v_lshlrev_b64 v[0:1], 2, v[0:1]
	v_mov_b32_e32 v2, s45
	v_add_co_u32_e32 v0, vcc, s44, v0
	v_addc_co_u32_e32 v1, vcc, v2, v1, vcc
	global_load_dword v2, v[0:1], off
	s_waitcnt vmcnt(0)
	v_bfe_u32 v3, v2, 15, 1
	v_bfe_u32 v6, v2, 10, 5
	v_cmp_lt_i32_e32 vcc, 30, v6
	v_lshlrev_b32_e32 v5, 31, v3
	s_and_saveexec_b64 s[36:37], vcc
	s_xor_b64 s[36:37], exec, s[36:37]
; %bb.33:                               ;   in Loop: Header=BB34_3 Depth=1
	v_lshlrev_b32_e32 v3, 31, v3
	v_lshlrev_b32_sdwa v5, v80, v2 dst_sel:DWORD dst_unused:UNUSED_PAD src0_sel:DWORD src1_sel:WORD_0
	v_or3_b32 v5, v3, v5, s41
                                        ; implicit-def: $vgpr6
                                        ; implicit-def: $vgpr3
; %bb.34:                               ;   in Loop: Header=BB34_3 Depth=1
	s_andn2_saveexec_b64 s[36:37], s[36:37]
	s_cbranch_execz .LBB34_42
; %bb.35:                               ;   in Loop: Header=BB34_3 Depth=1
	v_and_b32_e32 v7, 0x3ff, v2
	v_cmp_ne_u32_e32 vcc, 0, v6
	s_and_saveexec_b64 s[52:53], vcc
	s_xor_b64 s[52:53], exec, s[52:53]
; %bb.36:                               ;   in Loop: Header=BB34_3 Depth=1
	v_lshlrev_b32_e32 v3, 31, v3
	v_lshlrev_b32_e32 v5, 23, v6
	v_lshlrev_b32_e32 v6, 13, v7
	v_or3_b32 v3, v5, v3, v6
	v_add_u32_e32 v5, 0x38000000, v3
                                        ; implicit-def: $vgpr7
                                        ; implicit-def: $vgpr3
; %bb.37:                               ;   in Loop: Header=BB34_3 Depth=1
	s_andn2_saveexec_b64 s[52:53], s[52:53]
	s_cbranch_execz .LBB34_41
; %bb.38:                               ;   in Loop: Header=BB34_3 Depth=1
	v_cmp_ne_u32_e32 vcc, 0, v7
	s_and_saveexec_b64 s[54:55], vcc
	s_xor_b64 s[54:55], exec, s[54:55]
; %bb.39:                               ;   in Loop: Header=BB34_3 Depth=1
	v_ffbh_u32_e32 v5, v7
	v_xor_b32_e32 v6, 31, v5
	v_sub_u32_e32 v6, 9, v6
	v_lshlrev_b32_e32 v6, v6, v2
	v_lshlrev_b32_e32 v3, 31, v3
	;; [unrolled: 1-line block ×4, first 2 shown]
	v_and_or_b32 v3, v6, s60, v3
	v_sub_u32_e32 v3, v3, v5
	v_add_u32_e32 v5, 0x43000000, v3
; %bb.40:                               ;   in Loop: Header=BB34_3 Depth=1
	s_andn2_saveexec_b64 s[54:55], s[54:55]
	s_or_b64 exec, exec, s[54:55]
.LBB34_41:                              ;   in Loop: Header=BB34_3 Depth=1
	s_or_b64 exec, exec, s[52:53]
.LBB34_42:                              ;   in Loop: Header=BB34_3 Depth=1
	s_or_b64 exec, exec, s[36:37]
	v_bfe_u32 v7, v2, 26, 5
	v_cmp_lt_i32_e32 vcc, 30, v7
                                        ; implicit-def: $vgpr6
	s_and_saveexec_b64 s[36:37], vcc
	s_xor_b64 s[36:37], exec, s[36:37]
; %bb.43:                               ;   in Loop: Header=BB34_3 Depth=1
	v_and_b32_e32 v3, 0x80000000, v2
	v_lshlrev_b32_sdwa v2, v80, v2 dst_sel:DWORD dst_unused:UNUSED_PAD src0_sel:DWORD src1_sel:WORD_1
	v_or3_b32 v6, v2, v3, s41
                                        ; implicit-def: $vgpr2
                                        ; implicit-def: $vgpr7
; %bb.44:                               ;   in Loop: Header=BB34_3 Depth=1
	s_andn2_saveexec_b64 s[36:37], s[36:37]
	s_cbranch_execz .LBB34_54
; %bb.45:                               ;   in Loop: Header=BB34_3 Depth=1
	v_and_b32_sdwa v3, v2, s59 dst_sel:DWORD dst_unused:UNUSED_PAD src0_sel:WORD_1 src1_sel:DWORD
	v_cmp_ne_u32_e32 vcc, 0, v7
                                        ; implicit-def: $vgpr6
	s_and_saveexec_b64 s[52:53], vcc
	s_xor_b64 s[52:53], exec, s[52:53]
; %bb.46:                               ;   in Loop: Header=BB34_3 Depth=1
	v_and_b32_e32 v2, 0x80000000, v2
	v_lshlrev_b32_e32 v6, 23, v7
	v_lshlrev_b32_e32 v3, 13, v3
	v_or3_b32 v2, v6, v2, v3
	v_add_u32_e32 v6, 0x38000000, v2
                                        ; implicit-def: $vgpr2
                                        ; implicit-def: $vgpr3
; %bb.47:                               ;   in Loop: Header=BB34_3 Depth=1
	s_andn2_saveexec_b64 s[52:53], s[52:53]
	s_cbranch_execz .LBB34_53
; %bb.48:                               ;   in Loop: Header=BB34_3 Depth=1
	v_cmp_ne_u32_e32 vcc, 0, v3
                                        ; implicit-def: $vgpr6
	s_and_saveexec_b64 s[54:55], vcc
	s_xor_b64 s[54:55], exec, s[54:55]
; %bb.49:                               ;   in Loop: Header=BB34_3 Depth=1
	v_ffbh_u32_e32 v3, v3
	v_xor_b32_e32 v6, 31, v3
	v_sub_u32_e32 v6, 9, v6
	v_lshlrev_b32_sdwa v6, v6, v2 dst_sel:DWORD dst_unused:UNUSED_PAD src0_sel:DWORD src1_sel:WORD_1
	v_lshlrev_b32_e32 v6, 14, v6
	v_and_b32_e32 v6, 0x7fc000, v6
	v_lshlrev_b32_e32 v3, 23, v3
	v_and_or_b32 v2, v2, s61, v6
	v_sub_u32_e32 v2, v2, v3
	v_add_u32_e32 v6, 0x43000000, v2
                                        ; implicit-def: $vgpr2
; %bb.50:                               ;   in Loop: Header=BB34_3 Depth=1
	s_andn2_saveexec_b64 s[54:55], s[54:55]
; %bb.51:                               ;   in Loop: Header=BB34_3 Depth=1
	v_and_b32_e32 v6, 0x80000000, v2
; %bb.52:                               ;   in Loop: Header=BB34_3 Depth=1
	s_or_b64 exec, exec, s[54:55]
.LBB34_53:                              ;   in Loop: Header=BB34_3 Depth=1
	s_or_b64 exec, exec, s[52:53]
.LBB34_54:                              ;   in Loop: Header=BB34_3 Depth=1
	s_or_b64 exec, exec, s[36:37]
	v_add_co_u32_e64 v2, s[36:37], s63, v0
	s_andn2_b64 vcc, exec, s[46:47]
	v_addc_co_u32_e64 v3, s[36:37], 0, v1, s[36:37]
	s_cbranch_vccnz .LBB34_56
; %bb.55:                               ;   in Loop: Header=BB34_3 Depth=1
	global_load_ubyte v7, v[2:3], off offset:8
	global_load_ubyte v8, v[2:3], off
	global_load_ubyte v9, v[2:3], off offset:4
	s_waitcnt vmcnt(2)
	v_and_b32_e32 v10, 15, v7
	s_waitcnt vmcnt(1)
	v_lshrrev_b16_e32 v8, 2, v8
	s_waitcnt vmcnt(0)
	v_lshrrev_b16_e32 v9, 2, v9
	v_lshrrev_b16_e32 v7, 4, v7
	v_and_b32_e32 v8, 48, v8
	v_and_b32_e32 v9, 48, v9
	v_or_b32_e32 v8, v8, v10
	v_or_b32_e32 v7, v9, v7
	s_cbranch_execz .LBB34_57
	s_branch .LBB34_58
.LBB34_56:                              ;   in Loop: Header=BB34_3 Depth=1
                                        ; implicit-def: $vgpr7
                                        ; implicit-def: $vgpr8
.LBB34_57:                              ;   in Loop: Header=BB34_3 Depth=1
	global_load_ubyte v7, v[2:3], off offset:4
	s_nop 0
	global_load_ubyte v2, v[2:3], off offset:8
	s_waitcnt vmcnt(1)
	v_and_b32_e32 v8, 63, v7
	s_waitcnt vmcnt(0)
	v_and_b32_e32 v7, 63, v2
.LBB34_58:                              ;   in Loop: Header=BB34_3 Depth=1
	v_add_co_u32_e32 v0, vcc, v0, v4
	v_addc_co_u32_e32 v1, vcc, 0, v1, vcc
	global_load_ubyte v0, v[0:1], off offset:16
	v_cvt_f32_ubyte0_e32 v1, v8
	v_cvt_f32_ubyte0_e32 v2, v7
	v_mul_f32_e32 v1, v5, v1
	v_mul_f32_e32 v2, v6, v2
	s_waitcnt vmcnt(0)
	v_and_b32_e32 v3, 15, v0
	v_lshrrev_b32_e32 v0, 4, v0
	v_cndmask_b32_e64 v0, v0, v3, s[34:35]
	v_cvt_f32_ubyte0_e32 v0, v0
	v_fma_f32 v0, v1, v0, -v2
.LBB34_59:                              ;   in Loop: Header=BB34_3 Depth=1
	s_or_b64 exec, exec, s[50:51]
	ds_write_b32 v74, v0
	v_mov_b32_e32 v0, 0
	s_and_saveexec_b64 s[50:51], s[4:5]
	s_cbranch_execz .LBB34_87
; %bb.60:                               ;   in Loop: Header=BB34_3 Depth=1
	v_add_u32_e32 v1, s64, v59
	v_mov_b32_e32 v0, s43
	v_mad_u64_u32 v[0:1], s[36:37], v1, 36, v[0:1]
	v_mov_b32_e32 v1, v72
	v_lshlrev_b64 v[0:1], 2, v[0:1]
	v_mov_b32_e32 v2, s45
	v_add_co_u32_e32 v0, vcc, s44, v0
	v_addc_co_u32_e32 v1, vcc, v2, v1, vcc
	global_load_dword v2, v[0:1], off
	s_waitcnt vmcnt(0)
	v_bfe_u32 v3, v2, 15, 1
	v_bfe_u32 v6, v2, 10, 5
	v_cmp_lt_i32_e32 vcc, 30, v6
	v_lshlrev_b32_e32 v5, 31, v3
	s_and_saveexec_b64 s[36:37], vcc
	s_xor_b64 s[36:37], exec, s[36:37]
; %bb.61:                               ;   in Loop: Header=BB34_3 Depth=1
	v_lshlrev_b32_e32 v3, 31, v3
	v_lshlrev_b32_sdwa v5, v80, v2 dst_sel:DWORD dst_unused:UNUSED_PAD src0_sel:DWORD src1_sel:WORD_0
	v_or3_b32 v5, v3, v5, s41
                                        ; implicit-def: $vgpr6
                                        ; implicit-def: $vgpr3
; %bb.62:                               ;   in Loop: Header=BB34_3 Depth=1
	s_andn2_saveexec_b64 s[36:37], s[36:37]
	s_cbranch_execz .LBB34_70
; %bb.63:                               ;   in Loop: Header=BB34_3 Depth=1
	v_and_b32_e32 v7, 0x3ff, v2
	v_cmp_ne_u32_e32 vcc, 0, v6
	s_and_saveexec_b64 s[52:53], vcc
	s_xor_b64 s[52:53], exec, s[52:53]
; %bb.64:                               ;   in Loop: Header=BB34_3 Depth=1
	v_lshlrev_b32_e32 v3, 31, v3
	v_lshlrev_b32_e32 v5, 23, v6
	;; [unrolled: 1-line block ×3, first 2 shown]
	v_or3_b32 v3, v5, v3, v6
	v_add_u32_e32 v5, 0x38000000, v3
                                        ; implicit-def: $vgpr7
                                        ; implicit-def: $vgpr3
; %bb.65:                               ;   in Loop: Header=BB34_3 Depth=1
	s_andn2_saveexec_b64 s[52:53], s[52:53]
	s_cbranch_execz .LBB34_69
; %bb.66:                               ;   in Loop: Header=BB34_3 Depth=1
	v_cmp_ne_u32_e32 vcc, 0, v7
	s_and_saveexec_b64 s[54:55], vcc
	s_xor_b64 s[54:55], exec, s[54:55]
; %bb.67:                               ;   in Loop: Header=BB34_3 Depth=1
	v_ffbh_u32_e32 v5, v7
	v_xor_b32_e32 v6, 31, v5
	v_sub_u32_e32 v6, 9, v6
	v_lshlrev_b32_e32 v6, v6, v2
	v_lshlrev_b32_e32 v3, 31, v3
	;; [unrolled: 1-line block ×4, first 2 shown]
	v_and_or_b32 v3, v6, s60, v3
	v_sub_u32_e32 v3, v3, v5
	v_add_u32_e32 v5, 0x43000000, v3
; %bb.68:                               ;   in Loop: Header=BB34_3 Depth=1
	s_andn2_saveexec_b64 s[54:55], s[54:55]
	s_or_b64 exec, exec, s[54:55]
.LBB34_69:                              ;   in Loop: Header=BB34_3 Depth=1
	s_or_b64 exec, exec, s[52:53]
.LBB34_70:                              ;   in Loop: Header=BB34_3 Depth=1
	s_or_b64 exec, exec, s[36:37]
	v_bfe_u32 v7, v2, 26, 5
	v_cmp_lt_i32_e32 vcc, 30, v7
                                        ; implicit-def: $vgpr6
	s_and_saveexec_b64 s[36:37], vcc
	s_xor_b64 s[36:37], exec, s[36:37]
; %bb.71:                               ;   in Loop: Header=BB34_3 Depth=1
	v_and_b32_e32 v3, 0x80000000, v2
	v_lshlrev_b32_sdwa v2, v80, v2 dst_sel:DWORD dst_unused:UNUSED_PAD src0_sel:DWORD src1_sel:WORD_1
	v_or3_b32 v6, v2, v3, s41
                                        ; implicit-def: $vgpr2
                                        ; implicit-def: $vgpr7
; %bb.72:                               ;   in Loop: Header=BB34_3 Depth=1
	s_andn2_saveexec_b64 s[36:37], s[36:37]
	s_cbranch_execz .LBB34_82
; %bb.73:                               ;   in Loop: Header=BB34_3 Depth=1
	v_and_b32_sdwa v3, v2, s59 dst_sel:DWORD dst_unused:UNUSED_PAD src0_sel:WORD_1 src1_sel:DWORD
	v_cmp_ne_u32_e32 vcc, 0, v7
                                        ; implicit-def: $vgpr6
	s_and_saveexec_b64 s[52:53], vcc
	s_xor_b64 s[52:53], exec, s[52:53]
; %bb.74:                               ;   in Loop: Header=BB34_3 Depth=1
	v_and_b32_e32 v2, 0x80000000, v2
	v_lshlrev_b32_e32 v6, 23, v7
	v_lshlrev_b32_e32 v3, 13, v3
	v_or3_b32 v2, v6, v2, v3
	v_add_u32_e32 v6, 0x38000000, v2
                                        ; implicit-def: $vgpr2
                                        ; implicit-def: $vgpr3
; %bb.75:                               ;   in Loop: Header=BB34_3 Depth=1
	s_andn2_saveexec_b64 s[52:53], s[52:53]
	s_cbranch_execz .LBB34_81
; %bb.76:                               ;   in Loop: Header=BB34_3 Depth=1
	v_cmp_ne_u32_e32 vcc, 0, v3
                                        ; implicit-def: $vgpr6
	s_and_saveexec_b64 s[54:55], vcc
	s_xor_b64 s[54:55], exec, s[54:55]
; %bb.77:                               ;   in Loop: Header=BB34_3 Depth=1
	v_ffbh_u32_e32 v3, v3
	v_xor_b32_e32 v6, 31, v3
	v_sub_u32_e32 v6, 9, v6
	v_lshlrev_b32_sdwa v6, v6, v2 dst_sel:DWORD dst_unused:UNUSED_PAD src0_sel:DWORD src1_sel:WORD_1
	v_lshlrev_b32_e32 v6, 14, v6
	v_and_b32_e32 v6, 0x7fc000, v6
	v_lshlrev_b32_e32 v3, 23, v3
	v_and_or_b32 v2, v2, s61, v6
	v_sub_u32_e32 v2, v2, v3
	v_add_u32_e32 v6, 0x43000000, v2
                                        ; implicit-def: $vgpr2
; %bb.78:                               ;   in Loop: Header=BB34_3 Depth=1
	s_andn2_saveexec_b64 s[54:55], s[54:55]
; %bb.79:                               ;   in Loop: Header=BB34_3 Depth=1
	v_and_b32_e32 v6, 0x80000000, v2
; %bb.80:                               ;   in Loop: Header=BB34_3 Depth=1
	s_or_b64 exec, exec, s[54:55]
.LBB34_81:                              ;   in Loop: Header=BB34_3 Depth=1
	s_or_b64 exec, exec, s[52:53]
.LBB34_82:                              ;   in Loop: Header=BB34_3 Depth=1
	s_or_b64 exec, exec, s[36:37]
	v_add_co_u32_e64 v2, s[36:37], s63, v0
	s_andn2_b64 vcc, exec, s[46:47]
	v_addc_co_u32_e64 v3, s[36:37], 0, v1, s[36:37]
	s_cbranch_vccnz .LBB34_84
; %bb.83:                               ;   in Loop: Header=BB34_3 Depth=1
	global_load_ubyte v7, v[2:3], off offset:8
	global_load_ubyte v8, v[2:3], off
	global_load_ubyte v9, v[2:3], off offset:4
	s_waitcnt vmcnt(2)
	v_and_b32_e32 v10, 15, v7
	s_waitcnt vmcnt(1)
	v_lshrrev_b16_e32 v8, 2, v8
	s_waitcnt vmcnt(0)
	v_lshrrev_b16_e32 v9, 2, v9
	v_lshrrev_b16_e32 v7, 4, v7
	v_and_b32_e32 v8, 48, v8
	v_and_b32_e32 v9, 48, v9
	v_or_b32_e32 v8, v8, v10
	v_or_b32_e32 v7, v9, v7
	s_cbranch_execz .LBB34_85
	s_branch .LBB34_86
.LBB34_84:                              ;   in Loop: Header=BB34_3 Depth=1
                                        ; implicit-def: $vgpr7
                                        ; implicit-def: $vgpr8
.LBB34_85:                              ;   in Loop: Header=BB34_3 Depth=1
	global_load_ubyte v7, v[2:3], off offset:4
	s_nop 0
	global_load_ubyte v2, v[2:3], off offset:8
	s_waitcnt vmcnt(1)
	v_and_b32_e32 v8, 63, v7
	s_waitcnt vmcnt(0)
	v_and_b32_e32 v7, 63, v2
.LBB34_86:                              ;   in Loop: Header=BB34_3 Depth=1
	v_add_co_u32_e32 v0, vcc, v0, v4
	v_addc_co_u32_e32 v1, vcc, 0, v1, vcc
	global_load_ubyte v0, v[0:1], off offset:16
	v_cvt_f32_ubyte0_e32 v1, v8
	v_cvt_f32_ubyte0_e32 v2, v7
	v_mul_f32_e32 v1, v5, v1
	v_mul_f32_e32 v2, v6, v2
	s_waitcnt vmcnt(0)
	v_and_b32_e32 v3, 15, v0
	v_lshrrev_b32_e32 v0, 4, v0
	v_cndmask_b32_e64 v0, v0, v3, s[34:35]
	v_cvt_f32_ubyte0_e32 v0, v0
	v_fma_f32 v0, v1, v0, -v2
.LBB34_87:                              ;   in Loop: Header=BB34_3 Depth=1
	s_or_b64 exec, exec, s[50:51]
	ds_write_b32 v75, v0
	v_mov_b32_e32 v0, 0
	s_and_saveexec_b64 s[50:51], s[6:7]
	s_cbranch_execz .LBB34_115
; %bb.88:                               ;   in Loop: Header=BB34_3 Depth=1
	v_add_u32_e32 v1, s64, v61
	v_mov_b32_e32 v0, s43
	v_mad_u64_u32 v[0:1], s[36:37], v1, 36, v[0:1]
	v_mov_b32_e32 v1, v72
	v_lshlrev_b64 v[0:1], 2, v[0:1]
	v_mov_b32_e32 v2, s45
	v_add_co_u32_e32 v0, vcc, s44, v0
	v_addc_co_u32_e32 v1, vcc, v2, v1, vcc
	global_load_dword v2, v[0:1], off
	s_waitcnt vmcnt(0)
	v_bfe_u32 v3, v2, 15, 1
	v_bfe_u32 v6, v2, 10, 5
	v_cmp_lt_i32_e32 vcc, 30, v6
	v_lshlrev_b32_e32 v5, 31, v3
	s_and_saveexec_b64 s[36:37], vcc
	s_xor_b64 s[36:37], exec, s[36:37]
; %bb.89:                               ;   in Loop: Header=BB34_3 Depth=1
	v_lshlrev_b32_e32 v3, 31, v3
	v_lshlrev_b32_sdwa v5, v80, v2 dst_sel:DWORD dst_unused:UNUSED_PAD src0_sel:DWORD src1_sel:WORD_0
	v_or3_b32 v5, v3, v5, s41
                                        ; implicit-def: $vgpr6
                                        ; implicit-def: $vgpr3
; %bb.90:                               ;   in Loop: Header=BB34_3 Depth=1
	s_andn2_saveexec_b64 s[36:37], s[36:37]
	s_cbranch_execz .LBB34_98
; %bb.91:                               ;   in Loop: Header=BB34_3 Depth=1
	v_and_b32_e32 v7, 0x3ff, v2
	v_cmp_ne_u32_e32 vcc, 0, v6
	s_and_saveexec_b64 s[52:53], vcc
	s_xor_b64 s[52:53], exec, s[52:53]
; %bb.92:                               ;   in Loop: Header=BB34_3 Depth=1
	v_lshlrev_b32_e32 v3, 31, v3
	v_lshlrev_b32_e32 v5, 23, v6
	;; [unrolled: 1-line block ×3, first 2 shown]
	v_or3_b32 v3, v5, v3, v6
	v_add_u32_e32 v5, 0x38000000, v3
                                        ; implicit-def: $vgpr7
                                        ; implicit-def: $vgpr3
; %bb.93:                               ;   in Loop: Header=BB34_3 Depth=1
	s_andn2_saveexec_b64 s[52:53], s[52:53]
	s_cbranch_execz .LBB34_97
; %bb.94:                               ;   in Loop: Header=BB34_3 Depth=1
	v_cmp_ne_u32_e32 vcc, 0, v7
	s_and_saveexec_b64 s[54:55], vcc
	s_xor_b64 s[54:55], exec, s[54:55]
; %bb.95:                               ;   in Loop: Header=BB34_3 Depth=1
	v_ffbh_u32_e32 v5, v7
	v_xor_b32_e32 v6, 31, v5
	v_sub_u32_e32 v6, 9, v6
	v_lshlrev_b32_e32 v6, v6, v2
	v_lshlrev_b32_e32 v3, 31, v3
	;; [unrolled: 1-line block ×4, first 2 shown]
	v_and_or_b32 v3, v6, s60, v3
	v_sub_u32_e32 v3, v3, v5
	v_add_u32_e32 v5, 0x43000000, v3
; %bb.96:                               ;   in Loop: Header=BB34_3 Depth=1
	s_andn2_saveexec_b64 s[54:55], s[54:55]
	s_or_b64 exec, exec, s[54:55]
.LBB34_97:                              ;   in Loop: Header=BB34_3 Depth=1
	s_or_b64 exec, exec, s[52:53]
.LBB34_98:                              ;   in Loop: Header=BB34_3 Depth=1
	s_or_b64 exec, exec, s[36:37]
	v_bfe_u32 v7, v2, 26, 5
	v_cmp_lt_i32_e32 vcc, 30, v7
                                        ; implicit-def: $vgpr6
	s_and_saveexec_b64 s[36:37], vcc
	s_xor_b64 s[36:37], exec, s[36:37]
; %bb.99:                               ;   in Loop: Header=BB34_3 Depth=1
	v_and_b32_e32 v3, 0x80000000, v2
	v_lshlrev_b32_sdwa v2, v80, v2 dst_sel:DWORD dst_unused:UNUSED_PAD src0_sel:DWORD src1_sel:WORD_1
	v_or3_b32 v6, v2, v3, s41
                                        ; implicit-def: $vgpr2
                                        ; implicit-def: $vgpr7
; %bb.100:                              ;   in Loop: Header=BB34_3 Depth=1
	s_andn2_saveexec_b64 s[36:37], s[36:37]
	s_cbranch_execz .LBB34_110
; %bb.101:                              ;   in Loop: Header=BB34_3 Depth=1
	v_and_b32_sdwa v3, v2, s59 dst_sel:DWORD dst_unused:UNUSED_PAD src0_sel:WORD_1 src1_sel:DWORD
	v_cmp_ne_u32_e32 vcc, 0, v7
                                        ; implicit-def: $vgpr6
	s_and_saveexec_b64 s[52:53], vcc
	s_xor_b64 s[52:53], exec, s[52:53]
; %bb.102:                              ;   in Loop: Header=BB34_3 Depth=1
	v_and_b32_e32 v2, 0x80000000, v2
	v_lshlrev_b32_e32 v6, 23, v7
	v_lshlrev_b32_e32 v3, 13, v3
	v_or3_b32 v2, v6, v2, v3
	v_add_u32_e32 v6, 0x38000000, v2
                                        ; implicit-def: $vgpr2
                                        ; implicit-def: $vgpr3
; %bb.103:                              ;   in Loop: Header=BB34_3 Depth=1
	s_andn2_saveexec_b64 s[52:53], s[52:53]
	s_cbranch_execz .LBB34_109
; %bb.104:                              ;   in Loop: Header=BB34_3 Depth=1
	v_cmp_ne_u32_e32 vcc, 0, v3
                                        ; implicit-def: $vgpr6
	s_and_saveexec_b64 s[54:55], vcc
	s_xor_b64 s[54:55], exec, s[54:55]
; %bb.105:                              ;   in Loop: Header=BB34_3 Depth=1
	v_ffbh_u32_e32 v3, v3
	v_xor_b32_e32 v6, 31, v3
	v_sub_u32_e32 v6, 9, v6
	v_lshlrev_b32_sdwa v6, v6, v2 dst_sel:DWORD dst_unused:UNUSED_PAD src0_sel:DWORD src1_sel:WORD_1
	v_lshlrev_b32_e32 v6, 14, v6
	v_and_b32_e32 v6, 0x7fc000, v6
	v_lshlrev_b32_e32 v3, 23, v3
	v_and_or_b32 v2, v2, s61, v6
	v_sub_u32_e32 v2, v2, v3
	v_add_u32_e32 v6, 0x43000000, v2
                                        ; implicit-def: $vgpr2
; %bb.106:                              ;   in Loop: Header=BB34_3 Depth=1
	s_andn2_saveexec_b64 s[54:55], s[54:55]
; %bb.107:                              ;   in Loop: Header=BB34_3 Depth=1
	v_and_b32_e32 v6, 0x80000000, v2
; %bb.108:                              ;   in Loop: Header=BB34_3 Depth=1
	s_or_b64 exec, exec, s[54:55]
.LBB34_109:                             ;   in Loop: Header=BB34_3 Depth=1
	s_or_b64 exec, exec, s[52:53]
.LBB34_110:                             ;   in Loop: Header=BB34_3 Depth=1
	s_or_b64 exec, exec, s[36:37]
	v_add_co_u32_e64 v2, s[36:37], s63, v0
	s_andn2_b64 vcc, exec, s[46:47]
	v_addc_co_u32_e64 v3, s[36:37], 0, v1, s[36:37]
	s_cbranch_vccnz .LBB34_112
; %bb.111:                              ;   in Loop: Header=BB34_3 Depth=1
	global_load_ubyte v7, v[2:3], off offset:8
	global_load_ubyte v8, v[2:3], off
	global_load_ubyte v9, v[2:3], off offset:4
	s_waitcnt vmcnt(2)
	v_and_b32_e32 v10, 15, v7
	s_waitcnt vmcnt(1)
	v_lshrrev_b16_e32 v8, 2, v8
	s_waitcnt vmcnt(0)
	v_lshrrev_b16_e32 v9, 2, v9
	v_lshrrev_b16_e32 v7, 4, v7
	v_and_b32_e32 v8, 48, v8
	v_and_b32_e32 v9, 48, v9
	v_or_b32_e32 v8, v8, v10
	v_or_b32_e32 v7, v9, v7
	s_cbranch_execz .LBB34_113
	s_branch .LBB34_114
.LBB34_112:                             ;   in Loop: Header=BB34_3 Depth=1
                                        ; implicit-def: $vgpr7
                                        ; implicit-def: $vgpr8
.LBB34_113:                             ;   in Loop: Header=BB34_3 Depth=1
	global_load_ubyte v7, v[2:3], off offset:4
	s_nop 0
	global_load_ubyte v2, v[2:3], off offset:8
	s_waitcnt vmcnt(1)
	v_and_b32_e32 v8, 63, v7
	s_waitcnt vmcnt(0)
	v_and_b32_e32 v7, 63, v2
.LBB34_114:                             ;   in Loop: Header=BB34_3 Depth=1
	v_add_co_u32_e32 v0, vcc, v0, v4
	v_addc_co_u32_e32 v1, vcc, 0, v1, vcc
	global_load_ubyte v0, v[0:1], off offset:16
	v_cvt_f32_ubyte0_e32 v1, v8
	v_cvt_f32_ubyte0_e32 v2, v7
	v_mul_f32_e32 v1, v5, v1
	v_mul_f32_e32 v2, v6, v2
	s_waitcnt vmcnt(0)
	v_and_b32_e32 v3, 15, v0
	v_lshrrev_b32_e32 v0, 4, v0
	v_cndmask_b32_e64 v0, v0, v3, s[34:35]
	v_cvt_f32_ubyte0_e32 v0, v0
	v_fma_f32 v0, v1, v0, -v2
.LBB34_115:                             ;   in Loop: Header=BB34_3 Depth=1
	s_or_b64 exec, exec, s[50:51]
	ds_write_b32 v76, v0
	v_mov_b32_e32 v0, 0
	s_and_saveexec_b64 s[50:51], s[8:9]
	s_cbranch_execz .LBB34_143
; %bb.116:                              ;   in Loop: Header=BB34_3 Depth=1
	v_add_u32_e32 v1, s64, v63
	v_mov_b32_e32 v0, s43
	v_mad_u64_u32 v[0:1], s[36:37], v1, 36, v[0:1]
	v_mov_b32_e32 v1, v72
	v_lshlrev_b64 v[0:1], 2, v[0:1]
	v_mov_b32_e32 v2, s45
	v_add_co_u32_e32 v0, vcc, s44, v0
	v_addc_co_u32_e32 v1, vcc, v2, v1, vcc
	global_load_dword v2, v[0:1], off
	s_waitcnt vmcnt(0)
	v_bfe_u32 v3, v2, 15, 1
	v_bfe_u32 v6, v2, 10, 5
	v_cmp_lt_i32_e32 vcc, 30, v6
	v_lshlrev_b32_e32 v5, 31, v3
	s_and_saveexec_b64 s[36:37], vcc
	s_xor_b64 s[36:37], exec, s[36:37]
; %bb.117:                              ;   in Loop: Header=BB34_3 Depth=1
	v_lshlrev_b32_e32 v3, 31, v3
	v_lshlrev_b32_sdwa v5, v80, v2 dst_sel:DWORD dst_unused:UNUSED_PAD src0_sel:DWORD src1_sel:WORD_0
	v_or3_b32 v5, v3, v5, s41
                                        ; implicit-def: $vgpr6
                                        ; implicit-def: $vgpr3
; %bb.118:                              ;   in Loop: Header=BB34_3 Depth=1
	s_andn2_saveexec_b64 s[36:37], s[36:37]
	s_cbranch_execz .LBB34_126
; %bb.119:                              ;   in Loop: Header=BB34_3 Depth=1
	v_and_b32_e32 v7, 0x3ff, v2
	v_cmp_ne_u32_e32 vcc, 0, v6
	s_and_saveexec_b64 s[52:53], vcc
	s_xor_b64 s[52:53], exec, s[52:53]
; %bb.120:                              ;   in Loop: Header=BB34_3 Depth=1
	v_lshlrev_b32_e32 v3, 31, v3
	v_lshlrev_b32_e32 v5, 23, v6
	;; [unrolled: 1-line block ×3, first 2 shown]
	v_or3_b32 v3, v5, v3, v6
	v_add_u32_e32 v5, 0x38000000, v3
                                        ; implicit-def: $vgpr7
                                        ; implicit-def: $vgpr3
; %bb.121:                              ;   in Loop: Header=BB34_3 Depth=1
	s_andn2_saveexec_b64 s[52:53], s[52:53]
	s_cbranch_execz .LBB34_125
; %bb.122:                              ;   in Loop: Header=BB34_3 Depth=1
	v_cmp_ne_u32_e32 vcc, 0, v7
	s_and_saveexec_b64 s[54:55], vcc
	s_xor_b64 s[54:55], exec, s[54:55]
; %bb.123:                              ;   in Loop: Header=BB34_3 Depth=1
	v_ffbh_u32_e32 v5, v7
	v_xor_b32_e32 v6, 31, v5
	v_sub_u32_e32 v6, 9, v6
	v_lshlrev_b32_e32 v6, v6, v2
	v_lshlrev_b32_e32 v3, 31, v3
	v_lshlrev_b32_e32 v6, 14, v6
	v_lshlrev_b32_e32 v5, 23, v5
	v_and_or_b32 v3, v6, s60, v3
	v_sub_u32_e32 v3, v3, v5
	v_add_u32_e32 v5, 0x43000000, v3
; %bb.124:                              ;   in Loop: Header=BB34_3 Depth=1
	s_andn2_saveexec_b64 s[54:55], s[54:55]
	s_or_b64 exec, exec, s[54:55]
.LBB34_125:                             ;   in Loop: Header=BB34_3 Depth=1
	s_or_b64 exec, exec, s[52:53]
.LBB34_126:                             ;   in Loop: Header=BB34_3 Depth=1
	s_or_b64 exec, exec, s[36:37]
	v_bfe_u32 v7, v2, 26, 5
	v_cmp_lt_i32_e32 vcc, 30, v7
                                        ; implicit-def: $vgpr6
	s_and_saveexec_b64 s[36:37], vcc
	s_xor_b64 s[36:37], exec, s[36:37]
; %bb.127:                              ;   in Loop: Header=BB34_3 Depth=1
	v_and_b32_e32 v3, 0x80000000, v2
	v_lshlrev_b32_sdwa v2, v80, v2 dst_sel:DWORD dst_unused:UNUSED_PAD src0_sel:DWORD src1_sel:WORD_1
	v_or3_b32 v6, v2, v3, s41
                                        ; implicit-def: $vgpr2
                                        ; implicit-def: $vgpr7
; %bb.128:                              ;   in Loop: Header=BB34_3 Depth=1
	s_andn2_saveexec_b64 s[36:37], s[36:37]
	s_cbranch_execz .LBB34_138
; %bb.129:                              ;   in Loop: Header=BB34_3 Depth=1
	v_and_b32_sdwa v3, v2, s59 dst_sel:DWORD dst_unused:UNUSED_PAD src0_sel:WORD_1 src1_sel:DWORD
	v_cmp_ne_u32_e32 vcc, 0, v7
                                        ; implicit-def: $vgpr6
	s_and_saveexec_b64 s[52:53], vcc
	s_xor_b64 s[52:53], exec, s[52:53]
; %bb.130:                              ;   in Loop: Header=BB34_3 Depth=1
	v_and_b32_e32 v2, 0x80000000, v2
	v_lshlrev_b32_e32 v6, 23, v7
	v_lshlrev_b32_e32 v3, 13, v3
	v_or3_b32 v2, v6, v2, v3
	v_add_u32_e32 v6, 0x38000000, v2
                                        ; implicit-def: $vgpr2
                                        ; implicit-def: $vgpr3
; %bb.131:                              ;   in Loop: Header=BB34_3 Depth=1
	s_andn2_saveexec_b64 s[52:53], s[52:53]
	s_cbranch_execz .LBB34_137
; %bb.132:                              ;   in Loop: Header=BB34_3 Depth=1
	v_cmp_ne_u32_e32 vcc, 0, v3
                                        ; implicit-def: $vgpr6
	s_and_saveexec_b64 s[54:55], vcc
	s_xor_b64 s[54:55], exec, s[54:55]
; %bb.133:                              ;   in Loop: Header=BB34_3 Depth=1
	v_ffbh_u32_e32 v3, v3
	v_xor_b32_e32 v6, 31, v3
	v_sub_u32_e32 v6, 9, v6
	v_lshlrev_b32_sdwa v6, v6, v2 dst_sel:DWORD dst_unused:UNUSED_PAD src0_sel:DWORD src1_sel:WORD_1
	v_lshlrev_b32_e32 v6, 14, v6
	v_and_b32_e32 v6, 0x7fc000, v6
	v_lshlrev_b32_e32 v3, 23, v3
	v_and_or_b32 v2, v2, s61, v6
	v_sub_u32_e32 v2, v2, v3
	v_add_u32_e32 v6, 0x43000000, v2
                                        ; implicit-def: $vgpr2
; %bb.134:                              ;   in Loop: Header=BB34_3 Depth=1
	s_andn2_saveexec_b64 s[54:55], s[54:55]
; %bb.135:                              ;   in Loop: Header=BB34_3 Depth=1
	v_and_b32_e32 v6, 0x80000000, v2
; %bb.136:                              ;   in Loop: Header=BB34_3 Depth=1
	s_or_b64 exec, exec, s[54:55]
.LBB34_137:                             ;   in Loop: Header=BB34_3 Depth=1
	s_or_b64 exec, exec, s[52:53]
.LBB34_138:                             ;   in Loop: Header=BB34_3 Depth=1
	s_or_b64 exec, exec, s[36:37]
	v_add_co_u32_e64 v2, s[36:37], s63, v0
	s_andn2_b64 vcc, exec, s[46:47]
	v_addc_co_u32_e64 v3, s[36:37], 0, v1, s[36:37]
	s_cbranch_vccnz .LBB34_140
; %bb.139:                              ;   in Loop: Header=BB34_3 Depth=1
	global_load_ubyte v7, v[2:3], off offset:8
	global_load_ubyte v8, v[2:3], off
	global_load_ubyte v9, v[2:3], off offset:4
	s_waitcnt vmcnt(2)
	v_and_b32_e32 v10, 15, v7
	s_waitcnt vmcnt(1)
	v_lshrrev_b16_e32 v8, 2, v8
	s_waitcnt vmcnt(0)
	v_lshrrev_b16_e32 v9, 2, v9
	v_lshrrev_b16_e32 v7, 4, v7
	v_and_b32_e32 v8, 48, v8
	v_and_b32_e32 v9, 48, v9
	v_or_b32_e32 v8, v8, v10
	v_or_b32_e32 v7, v9, v7
	s_cbranch_execz .LBB34_141
	s_branch .LBB34_142
.LBB34_140:                             ;   in Loop: Header=BB34_3 Depth=1
                                        ; implicit-def: $vgpr7
                                        ; implicit-def: $vgpr8
.LBB34_141:                             ;   in Loop: Header=BB34_3 Depth=1
	global_load_ubyte v7, v[2:3], off offset:4
	s_nop 0
	global_load_ubyte v2, v[2:3], off offset:8
	s_waitcnt vmcnt(1)
	v_and_b32_e32 v8, 63, v7
	s_waitcnt vmcnt(0)
	v_and_b32_e32 v7, 63, v2
.LBB34_142:                             ;   in Loop: Header=BB34_3 Depth=1
	v_add_co_u32_e32 v0, vcc, v0, v4
	v_addc_co_u32_e32 v1, vcc, 0, v1, vcc
	global_load_ubyte v0, v[0:1], off offset:16
	v_cvt_f32_ubyte0_e32 v1, v8
	v_cvt_f32_ubyte0_e32 v2, v7
	v_mul_f32_e32 v1, v5, v1
	v_mul_f32_e32 v2, v6, v2
	s_waitcnt vmcnt(0)
	v_and_b32_e32 v3, 15, v0
	v_lshrrev_b32_e32 v0, 4, v0
	v_cndmask_b32_e64 v0, v0, v3, s[34:35]
	v_cvt_f32_ubyte0_e32 v0, v0
	v_fma_f32 v0, v1, v0, -v2
.LBB34_143:                             ;   in Loop: Header=BB34_3 Depth=1
	s_or_b64 exec, exec, s[50:51]
	ds_write_b32 v73, v0 offset:128
	v_mov_b32_e32 v0, 0
	s_and_saveexec_b64 s[50:51], s[10:11]
	s_cbranch_execz .LBB34_171
; %bb.144:                              ;   in Loop: Header=BB34_3 Depth=1
	v_add_u32_e32 v1, s64, v64
	v_mov_b32_e32 v0, s43
	v_mad_u64_u32 v[0:1], s[36:37], v1, 36, v[0:1]
	v_mov_b32_e32 v1, v72
	v_lshlrev_b64 v[0:1], 2, v[0:1]
	v_mov_b32_e32 v2, s45
	v_add_co_u32_e32 v0, vcc, s44, v0
	v_addc_co_u32_e32 v1, vcc, v2, v1, vcc
	global_load_dword v2, v[0:1], off
	s_waitcnt vmcnt(0)
	v_bfe_u32 v3, v2, 15, 1
	v_bfe_u32 v6, v2, 10, 5
	v_cmp_lt_i32_e32 vcc, 30, v6
	v_lshlrev_b32_e32 v5, 31, v3
	s_and_saveexec_b64 s[36:37], vcc
	s_xor_b64 s[36:37], exec, s[36:37]
; %bb.145:                              ;   in Loop: Header=BB34_3 Depth=1
	v_lshlrev_b32_e32 v3, 31, v3
	v_lshlrev_b32_sdwa v5, v80, v2 dst_sel:DWORD dst_unused:UNUSED_PAD src0_sel:DWORD src1_sel:WORD_0
	v_or3_b32 v5, v3, v5, s41
                                        ; implicit-def: $vgpr6
                                        ; implicit-def: $vgpr3
; %bb.146:                              ;   in Loop: Header=BB34_3 Depth=1
	s_andn2_saveexec_b64 s[36:37], s[36:37]
	s_cbranch_execz .LBB34_154
; %bb.147:                              ;   in Loop: Header=BB34_3 Depth=1
	v_and_b32_e32 v7, 0x3ff, v2
	v_cmp_ne_u32_e32 vcc, 0, v6
	s_and_saveexec_b64 s[52:53], vcc
	s_xor_b64 s[52:53], exec, s[52:53]
; %bb.148:                              ;   in Loop: Header=BB34_3 Depth=1
	v_lshlrev_b32_e32 v3, 31, v3
	v_lshlrev_b32_e32 v5, 23, v6
	;; [unrolled: 1-line block ×3, first 2 shown]
	v_or3_b32 v3, v5, v3, v6
	v_add_u32_e32 v5, 0x38000000, v3
                                        ; implicit-def: $vgpr7
                                        ; implicit-def: $vgpr3
; %bb.149:                              ;   in Loop: Header=BB34_3 Depth=1
	s_andn2_saveexec_b64 s[52:53], s[52:53]
	s_cbranch_execz .LBB34_153
; %bb.150:                              ;   in Loop: Header=BB34_3 Depth=1
	v_cmp_ne_u32_e32 vcc, 0, v7
	s_and_saveexec_b64 s[54:55], vcc
	s_xor_b64 s[54:55], exec, s[54:55]
; %bb.151:                              ;   in Loop: Header=BB34_3 Depth=1
	v_ffbh_u32_e32 v5, v7
	v_xor_b32_e32 v6, 31, v5
	v_sub_u32_e32 v6, 9, v6
	v_lshlrev_b32_e32 v6, v6, v2
	v_lshlrev_b32_e32 v3, 31, v3
	;; [unrolled: 1-line block ×4, first 2 shown]
	v_and_or_b32 v3, v6, s60, v3
	v_sub_u32_e32 v3, v3, v5
	v_add_u32_e32 v5, 0x43000000, v3
; %bb.152:                              ;   in Loop: Header=BB34_3 Depth=1
	s_andn2_saveexec_b64 s[54:55], s[54:55]
	s_or_b64 exec, exec, s[54:55]
.LBB34_153:                             ;   in Loop: Header=BB34_3 Depth=1
	s_or_b64 exec, exec, s[52:53]
.LBB34_154:                             ;   in Loop: Header=BB34_3 Depth=1
	s_or_b64 exec, exec, s[36:37]
	v_bfe_u32 v7, v2, 26, 5
	v_cmp_lt_i32_e32 vcc, 30, v7
                                        ; implicit-def: $vgpr6
	s_and_saveexec_b64 s[36:37], vcc
	s_xor_b64 s[36:37], exec, s[36:37]
; %bb.155:                              ;   in Loop: Header=BB34_3 Depth=1
	v_and_b32_e32 v3, 0x80000000, v2
	v_lshlrev_b32_sdwa v2, v80, v2 dst_sel:DWORD dst_unused:UNUSED_PAD src0_sel:DWORD src1_sel:WORD_1
	v_or3_b32 v6, v2, v3, s41
                                        ; implicit-def: $vgpr2
                                        ; implicit-def: $vgpr7
; %bb.156:                              ;   in Loop: Header=BB34_3 Depth=1
	s_andn2_saveexec_b64 s[36:37], s[36:37]
	s_cbranch_execz .LBB34_166
; %bb.157:                              ;   in Loop: Header=BB34_3 Depth=1
	v_and_b32_sdwa v3, v2, s59 dst_sel:DWORD dst_unused:UNUSED_PAD src0_sel:WORD_1 src1_sel:DWORD
	v_cmp_ne_u32_e32 vcc, 0, v7
                                        ; implicit-def: $vgpr6
	s_and_saveexec_b64 s[52:53], vcc
	s_xor_b64 s[52:53], exec, s[52:53]
; %bb.158:                              ;   in Loop: Header=BB34_3 Depth=1
	v_and_b32_e32 v2, 0x80000000, v2
	v_lshlrev_b32_e32 v6, 23, v7
	v_lshlrev_b32_e32 v3, 13, v3
	v_or3_b32 v2, v6, v2, v3
	v_add_u32_e32 v6, 0x38000000, v2
                                        ; implicit-def: $vgpr2
                                        ; implicit-def: $vgpr3
; %bb.159:                              ;   in Loop: Header=BB34_3 Depth=1
	s_andn2_saveexec_b64 s[52:53], s[52:53]
	s_cbranch_execz .LBB34_165
; %bb.160:                              ;   in Loop: Header=BB34_3 Depth=1
	v_cmp_ne_u32_e32 vcc, 0, v3
                                        ; implicit-def: $vgpr6
	s_and_saveexec_b64 s[54:55], vcc
	s_xor_b64 s[54:55], exec, s[54:55]
; %bb.161:                              ;   in Loop: Header=BB34_3 Depth=1
	v_ffbh_u32_e32 v3, v3
	v_xor_b32_e32 v6, 31, v3
	v_sub_u32_e32 v6, 9, v6
	v_lshlrev_b32_sdwa v6, v6, v2 dst_sel:DWORD dst_unused:UNUSED_PAD src0_sel:DWORD src1_sel:WORD_1
	v_lshlrev_b32_e32 v6, 14, v6
	v_and_b32_e32 v6, 0x7fc000, v6
	v_lshlrev_b32_e32 v3, 23, v3
	v_and_or_b32 v2, v2, s61, v6
	v_sub_u32_e32 v2, v2, v3
	v_add_u32_e32 v6, 0x43000000, v2
                                        ; implicit-def: $vgpr2
; %bb.162:                              ;   in Loop: Header=BB34_3 Depth=1
	s_andn2_saveexec_b64 s[54:55], s[54:55]
; %bb.163:                              ;   in Loop: Header=BB34_3 Depth=1
	v_and_b32_e32 v6, 0x80000000, v2
; %bb.164:                              ;   in Loop: Header=BB34_3 Depth=1
	s_or_b64 exec, exec, s[54:55]
.LBB34_165:                             ;   in Loop: Header=BB34_3 Depth=1
	s_or_b64 exec, exec, s[52:53]
.LBB34_166:                             ;   in Loop: Header=BB34_3 Depth=1
	s_or_b64 exec, exec, s[36:37]
	v_add_co_u32_e64 v2, s[36:37], s63, v0
	s_andn2_b64 vcc, exec, s[46:47]
	v_addc_co_u32_e64 v3, s[36:37], 0, v1, s[36:37]
	s_cbranch_vccnz .LBB34_168
; %bb.167:                              ;   in Loop: Header=BB34_3 Depth=1
	global_load_ubyte v7, v[2:3], off offset:8
	global_load_ubyte v8, v[2:3], off
	global_load_ubyte v9, v[2:3], off offset:4
	s_waitcnt vmcnt(2)
	v_and_b32_e32 v10, 15, v7
	s_waitcnt vmcnt(1)
	v_lshrrev_b16_e32 v8, 2, v8
	s_waitcnt vmcnt(0)
	v_lshrrev_b16_e32 v9, 2, v9
	v_lshrrev_b16_e32 v7, 4, v7
	v_and_b32_e32 v8, 48, v8
	v_and_b32_e32 v9, 48, v9
	v_or_b32_e32 v8, v8, v10
	v_or_b32_e32 v7, v9, v7
	s_cbranch_execz .LBB34_169
	s_branch .LBB34_170
.LBB34_168:                             ;   in Loop: Header=BB34_3 Depth=1
                                        ; implicit-def: $vgpr7
                                        ; implicit-def: $vgpr8
.LBB34_169:                             ;   in Loop: Header=BB34_3 Depth=1
	global_load_ubyte v7, v[2:3], off offset:4
	s_nop 0
	global_load_ubyte v2, v[2:3], off offset:8
	s_waitcnt vmcnt(1)
	v_and_b32_e32 v8, 63, v7
	s_waitcnt vmcnt(0)
	v_and_b32_e32 v7, 63, v2
.LBB34_170:                             ;   in Loop: Header=BB34_3 Depth=1
	v_add_co_u32_e32 v0, vcc, v0, v4
	v_addc_co_u32_e32 v1, vcc, 0, v1, vcc
	global_load_ubyte v0, v[0:1], off offset:16
	v_cvt_f32_ubyte0_e32 v1, v8
	v_cvt_f32_ubyte0_e32 v2, v7
	v_mul_f32_e32 v1, v5, v1
	v_mul_f32_e32 v2, v6, v2
	s_waitcnt vmcnt(0)
	v_and_b32_e32 v3, 15, v0
	v_lshrrev_b32_e32 v0, 4, v0
	v_cndmask_b32_e64 v0, v0, v3, s[34:35]
	v_cvt_f32_ubyte0_e32 v0, v0
	v_fma_f32 v0, v1, v0, -v2
.LBB34_171:                             ;   in Loop: Header=BB34_3 Depth=1
	s_or_b64 exec, exec, s[50:51]
	ds_write_b32 v77, v0
	v_mov_b32_e32 v0, 0
	s_and_saveexec_b64 s[50:51], s[12:13]
	s_cbranch_execz .LBB34_199
; %bb.172:                              ;   in Loop: Header=BB34_3 Depth=1
	v_add_u32_e32 v1, s64, v66
	v_mov_b32_e32 v0, s43
	v_mad_u64_u32 v[0:1], s[36:37], v1, 36, v[0:1]
	v_mov_b32_e32 v1, v72
	v_lshlrev_b64 v[0:1], 2, v[0:1]
	v_mov_b32_e32 v2, s45
	v_add_co_u32_e32 v0, vcc, s44, v0
	v_addc_co_u32_e32 v1, vcc, v2, v1, vcc
	global_load_dword v2, v[0:1], off
	s_waitcnt vmcnt(0)
	v_bfe_u32 v3, v2, 15, 1
	v_bfe_u32 v6, v2, 10, 5
	v_cmp_lt_i32_e32 vcc, 30, v6
	v_lshlrev_b32_e32 v5, 31, v3
	s_and_saveexec_b64 s[36:37], vcc
	s_xor_b64 s[36:37], exec, s[36:37]
; %bb.173:                              ;   in Loop: Header=BB34_3 Depth=1
	v_lshlrev_b32_e32 v3, 31, v3
	v_lshlrev_b32_sdwa v5, v80, v2 dst_sel:DWORD dst_unused:UNUSED_PAD src0_sel:DWORD src1_sel:WORD_0
	v_or3_b32 v5, v3, v5, s41
                                        ; implicit-def: $vgpr6
                                        ; implicit-def: $vgpr3
; %bb.174:                              ;   in Loop: Header=BB34_3 Depth=1
	s_andn2_saveexec_b64 s[36:37], s[36:37]
	s_cbranch_execz .LBB34_182
; %bb.175:                              ;   in Loop: Header=BB34_3 Depth=1
	v_and_b32_e32 v7, 0x3ff, v2
	v_cmp_ne_u32_e32 vcc, 0, v6
	s_and_saveexec_b64 s[52:53], vcc
	s_xor_b64 s[52:53], exec, s[52:53]
; %bb.176:                              ;   in Loop: Header=BB34_3 Depth=1
	v_lshlrev_b32_e32 v3, 31, v3
	v_lshlrev_b32_e32 v5, 23, v6
	;; [unrolled: 1-line block ×3, first 2 shown]
	v_or3_b32 v3, v5, v3, v6
	v_add_u32_e32 v5, 0x38000000, v3
                                        ; implicit-def: $vgpr7
                                        ; implicit-def: $vgpr3
; %bb.177:                              ;   in Loop: Header=BB34_3 Depth=1
	s_andn2_saveexec_b64 s[52:53], s[52:53]
	s_cbranch_execz .LBB34_181
; %bb.178:                              ;   in Loop: Header=BB34_3 Depth=1
	v_cmp_ne_u32_e32 vcc, 0, v7
	s_and_saveexec_b64 s[54:55], vcc
	s_xor_b64 s[54:55], exec, s[54:55]
; %bb.179:                              ;   in Loop: Header=BB34_3 Depth=1
	v_ffbh_u32_e32 v5, v7
	v_xor_b32_e32 v6, 31, v5
	v_sub_u32_e32 v6, 9, v6
	v_lshlrev_b32_e32 v6, v6, v2
	v_lshlrev_b32_e32 v3, 31, v3
	;; [unrolled: 1-line block ×4, first 2 shown]
	v_and_or_b32 v3, v6, s60, v3
	v_sub_u32_e32 v3, v3, v5
	v_add_u32_e32 v5, 0x43000000, v3
; %bb.180:                              ;   in Loop: Header=BB34_3 Depth=1
	s_andn2_saveexec_b64 s[54:55], s[54:55]
	s_or_b64 exec, exec, s[54:55]
.LBB34_181:                             ;   in Loop: Header=BB34_3 Depth=1
	s_or_b64 exec, exec, s[52:53]
.LBB34_182:                             ;   in Loop: Header=BB34_3 Depth=1
	s_or_b64 exec, exec, s[36:37]
	v_bfe_u32 v7, v2, 26, 5
	v_cmp_lt_i32_e32 vcc, 30, v7
                                        ; implicit-def: $vgpr6
	s_and_saveexec_b64 s[36:37], vcc
	s_xor_b64 s[36:37], exec, s[36:37]
; %bb.183:                              ;   in Loop: Header=BB34_3 Depth=1
	v_and_b32_e32 v3, 0x80000000, v2
	v_lshlrev_b32_sdwa v2, v80, v2 dst_sel:DWORD dst_unused:UNUSED_PAD src0_sel:DWORD src1_sel:WORD_1
	v_or3_b32 v6, v2, v3, s41
                                        ; implicit-def: $vgpr2
                                        ; implicit-def: $vgpr7
; %bb.184:                              ;   in Loop: Header=BB34_3 Depth=1
	s_andn2_saveexec_b64 s[36:37], s[36:37]
	s_cbranch_execz .LBB34_194
; %bb.185:                              ;   in Loop: Header=BB34_3 Depth=1
	v_and_b32_sdwa v3, v2, s59 dst_sel:DWORD dst_unused:UNUSED_PAD src0_sel:WORD_1 src1_sel:DWORD
	v_cmp_ne_u32_e32 vcc, 0, v7
                                        ; implicit-def: $vgpr6
	s_and_saveexec_b64 s[52:53], vcc
	s_xor_b64 s[52:53], exec, s[52:53]
; %bb.186:                              ;   in Loop: Header=BB34_3 Depth=1
	v_and_b32_e32 v2, 0x80000000, v2
	v_lshlrev_b32_e32 v6, 23, v7
	v_lshlrev_b32_e32 v3, 13, v3
	v_or3_b32 v2, v6, v2, v3
	v_add_u32_e32 v6, 0x38000000, v2
                                        ; implicit-def: $vgpr2
                                        ; implicit-def: $vgpr3
; %bb.187:                              ;   in Loop: Header=BB34_3 Depth=1
	s_andn2_saveexec_b64 s[52:53], s[52:53]
	s_cbranch_execz .LBB34_193
; %bb.188:                              ;   in Loop: Header=BB34_3 Depth=1
	v_cmp_ne_u32_e32 vcc, 0, v3
                                        ; implicit-def: $vgpr6
	s_and_saveexec_b64 s[54:55], vcc
	s_xor_b64 s[54:55], exec, s[54:55]
; %bb.189:                              ;   in Loop: Header=BB34_3 Depth=1
	v_ffbh_u32_e32 v3, v3
	v_xor_b32_e32 v6, 31, v3
	v_sub_u32_e32 v6, 9, v6
	v_lshlrev_b32_sdwa v6, v6, v2 dst_sel:DWORD dst_unused:UNUSED_PAD src0_sel:DWORD src1_sel:WORD_1
	v_lshlrev_b32_e32 v6, 14, v6
	v_and_b32_e32 v6, 0x7fc000, v6
	v_lshlrev_b32_e32 v3, 23, v3
	v_and_or_b32 v2, v2, s61, v6
	v_sub_u32_e32 v2, v2, v3
	v_add_u32_e32 v6, 0x43000000, v2
                                        ; implicit-def: $vgpr2
; %bb.190:                              ;   in Loop: Header=BB34_3 Depth=1
	s_andn2_saveexec_b64 s[54:55], s[54:55]
; %bb.191:                              ;   in Loop: Header=BB34_3 Depth=1
	v_and_b32_e32 v6, 0x80000000, v2
; %bb.192:                              ;   in Loop: Header=BB34_3 Depth=1
	s_or_b64 exec, exec, s[54:55]
.LBB34_193:                             ;   in Loop: Header=BB34_3 Depth=1
	s_or_b64 exec, exec, s[52:53]
.LBB34_194:                             ;   in Loop: Header=BB34_3 Depth=1
	s_or_b64 exec, exec, s[36:37]
	v_add_co_u32_e64 v2, s[36:37], s63, v0
	s_andn2_b64 vcc, exec, s[46:47]
	v_addc_co_u32_e64 v3, s[36:37], 0, v1, s[36:37]
	s_cbranch_vccnz .LBB34_196
; %bb.195:                              ;   in Loop: Header=BB34_3 Depth=1
	global_load_ubyte v7, v[2:3], off offset:8
	global_load_ubyte v8, v[2:3], off
	global_load_ubyte v9, v[2:3], off offset:4
	s_waitcnt vmcnt(2)
	v_and_b32_e32 v10, 15, v7
	s_waitcnt vmcnt(1)
	v_lshrrev_b16_e32 v8, 2, v8
	s_waitcnt vmcnt(0)
	v_lshrrev_b16_e32 v9, 2, v9
	v_lshrrev_b16_e32 v7, 4, v7
	v_and_b32_e32 v8, 48, v8
	v_and_b32_e32 v9, 48, v9
	v_or_b32_e32 v8, v8, v10
	v_or_b32_e32 v7, v9, v7
	s_cbranch_execz .LBB34_197
	s_branch .LBB34_198
.LBB34_196:                             ;   in Loop: Header=BB34_3 Depth=1
                                        ; implicit-def: $vgpr7
                                        ; implicit-def: $vgpr8
.LBB34_197:                             ;   in Loop: Header=BB34_3 Depth=1
	global_load_ubyte v7, v[2:3], off offset:4
	s_nop 0
	global_load_ubyte v2, v[2:3], off offset:8
	s_waitcnt vmcnt(1)
	v_and_b32_e32 v8, 63, v7
	s_waitcnt vmcnt(0)
	v_and_b32_e32 v7, 63, v2
.LBB34_198:                             ;   in Loop: Header=BB34_3 Depth=1
	v_add_co_u32_e32 v0, vcc, v0, v4
	v_addc_co_u32_e32 v1, vcc, 0, v1, vcc
	global_load_ubyte v0, v[0:1], off offset:16
	v_cvt_f32_ubyte0_e32 v1, v8
	v_cvt_f32_ubyte0_e32 v2, v7
	v_mul_f32_e32 v1, v5, v1
	v_mul_f32_e32 v2, v6, v2
	s_waitcnt vmcnt(0)
	v_and_b32_e32 v3, 15, v0
	v_lshrrev_b32_e32 v0, 4, v0
	v_cndmask_b32_e64 v0, v0, v3, s[34:35]
	v_cvt_f32_ubyte0_e32 v0, v0
	v_fma_f32 v0, v1, v0, -v2
.LBB34_199:                             ;   in Loop: Header=BB34_3 Depth=1
	s_or_b64 exec, exec, s[50:51]
	ds_write_b32 v78, v0
	v_mov_b32_e32 v0, 0
	s_and_saveexec_b64 s[50:51], s[14:15]
	s_cbranch_execz .LBB34_227
; %bb.200:                              ;   in Loop: Header=BB34_3 Depth=1
	v_add_u32_e32 v1, s64, v68
	v_mov_b32_e32 v0, s43
	v_mad_u64_u32 v[0:1], s[36:37], v1, 36, v[0:1]
	v_mov_b32_e32 v1, v72
	v_lshlrev_b64 v[0:1], 2, v[0:1]
	v_mov_b32_e32 v2, s45
	v_add_co_u32_e32 v0, vcc, s44, v0
	v_addc_co_u32_e32 v1, vcc, v2, v1, vcc
	global_load_dword v2, v[0:1], off
	s_waitcnt vmcnt(0)
	v_bfe_u32 v3, v2, 15, 1
	v_bfe_u32 v6, v2, 10, 5
	v_cmp_lt_i32_e32 vcc, 30, v6
	v_lshlrev_b32_e32 v5, 31, v3
	s_and_saveexec_b64 s[36:37], vcc
	s_xor_b64 s[36:37], exec, s[36:37]
; %bb.201:                              ;   in Loop: Header=BB34_3 Depth=1
	v_lshlrev_b32_e32 v3, 31, v3
	v_lshlrev_b32_sdwa v5, v80, v2 dst_sel:DWORD dst_unused:UNUSED_PAD src0_sel:DWORD src1_sel:WORD_0
	v_or3_b32 v5, v3, v5, s41
                                        ; implicit-def: $vgpr6
                                        ; implicit-def: $vgpr3
; %bb.202:                              ;   in Loop: Header=BB34_3 Depth=1
	s_andn2_saveexec_b64 s[36:37], s[36:37]
	s_cbranch_execz .LBB34_210
; %bb.203:                              ;   in Loop: Header=BB34_3 Depth=1
	v_and_b32_e32 v7, 0x3ff, v2
	v_cmp_ne_u32_e32 vcc, 0, v6
	s_and_saveexec_b64 s[52:53], vcc
	s_xor_b64 s[52:53], exec, s[52:53]
; %bb.204:                              ;   in Loop: Header=BB34_3 Depth=1
	v_lshlrev_b32_e32 v3, 31, v3
	v_lshlrev_b32_e32 v5, 23, v6
	;; [unrolled: 1-line block ×3, first 2 shown]
	v_or3_b32 v3, v5, v3, v6
	v_add_u32_e32 v5, 0x38000000, v3
                                        ; implicit-def: $vgpr7
                                        ; implicit-def: $vgpr3
; %bb.205:                              ;   in Loop: Header=BB34_3 Depth=1
	s_andn2_saveexec_b64 s[52:53], s[52:53]
	s_cbranch_execz .LBB34_209
; %bb.206:                              ;   in Loop: Header=BB34_3 Depth=1
	v_cmp_ne_u32_e32 vcc, 0, v7
	s_and_saveexec_b64 s[54:55], vcc
	s_xor_b64 s[54:55], exec, s[54:55]
; %bb.207:                              ;   in Loop: Header=BB34_3 Depth=1
	v_ffbh_u32_e32 v5, v7
	v_xor_b32_e32 v6, 31, v5
	v_sub_u32_e32 v6, 9, v6
	v_lshlrev_b32_e32 v6, v6, v2
	v_lshlrev_b32_e32 v3, 31, v3
	;; [unrolled: 1-line block ×4, first 2 shown]
	v_and_or_b32 v3, v6, s60, v3
	v_sub_u32_e32 v3, v3, v5
	v_add_u32_e32 v5, 0x43000000, v3
; %bb.208:                              ;   in Loop: Header=BB34_3 Depth=1
	s_andn2_saveexec_b64 s[54:55], s[54:55]
	s_or_b64 exec, exec, s[54:55]
.LBB34_209:                             ;   in Loop: Header=BB34_3 Depth=1
	s_or_b64 exec, exec, s[52:53]
.LBB34_210:                             ;   in Loop: Header=BB34_3 Depth=1
	s_or_b64 exec, exec, s[36:37]
	v_bfe_u32 v7, v2, 26, 5
	v_cmp_lt_i32_e32 vcc, 30, v7
                                        ; implicit-def: $vgpr6
	s_and_saveexec_b64 s[36:37], vcc
	s_xor_b64 s[36:37], exec, s[36:37]
; %bb.211:                              ;   in Loop: Header=BB34_3 Depth=1
	v_and_b32_e32 v3, 0x80000000, v2
	v_lshlrev_b32_sdwa v2, v80, v2 dst_sel:DWORD dst_unused:UNUSED_PAD src0_sel:DWORD src1_sel:WORD_1
	v_or3_b32 v6, v2, v3, s41
                                        ; implicit-def: $vgpr2
                                        ; implicit-def: $vgpr7
; %bb.212:                              ;   in Loop: Header=BB34_3 Depth=1
	s_andn2_saveexec_b64 s[36:37], s[36:37]
	s_cbranch_execz .LBB34_222
; %bb.213:                              ;   in Loop: Header=BB34_3 Depth=1
	v_and_b32_sdwa v3, v2, s59 dst_sel:DWORD dst_unused:UNUSED_PAD src0_sel:WORD_1 src1_sel:DWORD
	v_cmp_ne_u32_e32 vcc, 0, v7
                                        ; implicit-def: $vgpr6
	s_and_saveexec_b64 s[52:53], vcc
	s_xor_b64 s[52:53], exec, s[52:53]
; %bb.214:                              ;   in Loop: Header=BB34_3 Depth=1
	v_and_b32_e32 v2, 0x80000000, v2
	v_lshlrev_b32_e32 v6, 23, v7
	v_lshlrev_b32_e32 v3, 13, v3
	v_or3_b32 v2, v6, v2, v3
	v_add_u32_e32 v6, 0x38000000, v2
                                        ; implicit-def: $vgpr2
                                        ; implicit-def: $vgpr3
; %bb.215:                              ;   in Loop: Header=BB34_3 Depth=1
	s_andn2_saveexec_b64 s[52:53], s[52:53]
	s_cbranch_execz .LBB34_221
; %bb.216:                              ;   in Loop: Header=BB34_3 Depth=1
	v_cmp_ne_u32_e32 vcc, 0, v3
                                        ; implicit-def: $vgpr6
	s_and_saveexec_b64 s[54:55], vcc
	s_xor_b64 s[54:55], exec, s[54:55]
; %bb.217:                              ;   in Loop: Header=BB34_3 Depth=1
	v_ffbh_u32_e32 v3, v3
	v_xor_b32_e32 v6, 31, v3
	v_sub_u32_e32 v6, 9, v6
	v_lshlrev_b32_sdwa v6, v6, v2 dst_sel:DWORD dst_unused:UNUSED_PAD src0_sel:DWORD src1_sel:WORD_1
	v_lshlrev_b32_e32 v6, 14, v6
	v_and_b32_e32 v6, 0x7fc000, v6
	v_lshlrev_b32_e32 v3, 23, v3
	v_and_or_b32 v2, v2, s61, v6
	v_sub_u32_e32 v2, v2, v3
	v_add_u32_e32 v6, 0x43000000, v2
                                        ; implicit-def: $vgpr2
; %bb.218:                              ;   in Loop: Header=BB34_3 Depth=1
	s_andn2_saveexec_b64 s[54:55], s[54:55]
; %bb.219:                              ;   in Loop: Header=BB34_3 Depth=1
	v_and_b32_e32 v6, 0x80000000, v2
; %bb.220:                              ;   in Loop: Header=BB34_3 Depth=1
	s_or_b64 exec, exec, s[54:55]
.LBB34_221:                             ;   in Loop: Header=BB34_3 Depth=1
	s_or_b64 exec, exec, s[52:53]
.LBB34_222:                             ;   in Loop: Header=BB34_3 Depth=1
	s_or_b64 exec, exec, s[36:37]
	v_add_co_u32_e64 v2, s[36:37], s63, v0
	s_andn2_b64 vcc, exec, s[46:47]
	v_addc_co_u32_e64 v3, s[36:37], 0, v1, s[36:37]
	s_cbranch_vccnz .LBB34_224
; %bb.223:                              ;   in Loop: Header=BB34_3 Depth=1
	global_load_ubyte v7, v[2:3], off offset:8
	global_load_ubyte v8, v[2:3], off
	global_load_ubyte v9, v[2:3], off offset:4
	s_waitcnt vmcnt(2)
	v_and_b32_e32 v10, 15, v7
	s_waitcnt vmcnt(1)
	v_lshrrev_b16_e32 v8, 2, v8
	s_waitcnt vmcnt(0)
	v_lshrrev_b16_e32 v9, 2, v9
	v_lshrrev_b16_e32 v7, 4, v7
	v_and_b32_e32 v8, 48, v8
	v_and_b32_e32 v9, 48, v9
	v_or_b32_e32 v8, v8, v10
	v_or_b32_e32 v7, v9, v7
	s_cbranch_execz .LBB34_225
	s_branch .LBB34_226
.LBB34_224:                             ;   in Loop: Header=BB34_3 Depth=1
                                        ; implicit-def: $vgpr7
                                        ; implicit-def: $vgpr8
.LBB34_225:                             ;   in Loop: Header=BB34_3 Depth=1
	global_load_ubyte v7, v[2:3], off offset:4
	s_nop 0
	global_load_ubyte v2, v[2:3], off offset:8
	s_waitcnt vmcnt(1)
	v_and_b32_e32 v8, 63, v7
	s_waitcnt vmcnt(0)
	v_and_b32_e32 v7, 63, v2
.LBB34_226:                             ;   in Loop: Header=BB34_3 Depth=1
	v_add_co_u32_e32 v0, vcc, v0, v4
	v_addc_co_u32_e32 v1, vcc, 0, v1, vcc
	global_load_ubyte v0, v[0:1], off offset:16
	v_cvt_f32_ubyte0_e32 v1, v8
	v_cvt_f32_ubyte0_e32 v2, v7
	v_mul_f32_e32 v1, v5, v1
	v_mul_f32_e32 v2, v6, v2
	s_waitcnt vmcnt(0)
	v_and_b32_e32 v3, 15, v0
	v_lshrrev_b32_e32 v0, 4, v0
	v_cndmask_b32_e64 v0, v0, v3, s[34:35]
	v_cvt_f32_ubyte0_e32 v0, v0
	v_fma_f32 v0, v1, v0, -v2
.LBB34_227:                             ;   in Loop: Header=BB34_3 Depth=1
	s_or_b64 exec, exec, s[50:51]
	ds_write_b32 v79, v0
	v_mov_b32_e32 v0, 0
	v_mov_b32_e32 v1, 0
	s_and_saveexec_b64 s[34:35], s[16:17]
	s_cbranch_execz .LBB34_229
; %bb.228:                              ;   in Loop: Header=BB34_3 Depth=1
	v_add_co_u32_e32 v2, vcc, v30, v34
	v_addc_co_u32_e32 v3, vcc, 0, v31, vcc
	global_load_dword v1, v[2:3], off
.LBB34_229:                             ;   in Loop: Header=BB34_3 Depth=1
	s_or_b64 exec, exec, s[34:35]
	s_waitcnt vmcnt(0)
	ds_write_b32 v56, v1
	s_and_saveexec_b64 s[34:35], s[18:19]
	s_cbranch_execz .LBB34_231
; %bb.230:                              ;   in Loop: Header=BB34_3 Depth=1
	v_add_co_u32_e32 v0, vcc, v28, v34
	v_addc_co_u32_e32 v1, vcc, 0, v29, vcc
	global_load_dword v0, v[0:1], off
.LBB34_231:                             ;   in Loop: Header=BB34_3 Depth=1
	s_or_b64 exec, exec, s[34:35]
	s_waitcnt vmcnt(0)
	ds_write_b32 v58, v0
	v_mov_b32_e32 v0, 0
	v_mov_b32_e32 v1, 0
	s_and_saveexec_b64 s[34:35], s[20:21]
	s_cbranch_execz .LBB34_233
; %bb.232:                              ;   in Loop: Header=BB34_3 Depth=1
	v_add_co_u32_e32 v2, vcc, v26, v34
	v_addc_co_u32_e32 v3, vcc, 0, v27, vcc
	global_load_dword v1, v[2:3], off
.LBB34_233:                             ;   in Loop: Header=BB34_3 Depth=1
	s_or_b64 exec, exec, s[34:35]
	s_waitcnt vmcnt(0)
	ds_write_b32 v60, v1
	s_and_saveexec_b64 s[34:35], s[22:23]
	s_cbranch_execz .LBB34_235
; %bb.234:                              ;   in Loop: Header=BB34_3 Depth=1
	v_add_co_u32_e32 v0, vcc, v24, v34
	v_addc_co_u32_e32 v1, vcc, 0, v25, vcc
	global_load_dword v0, v[0:1], off
.LBB34_235:                             ;   in Loop: Header=BB34_3 Depth=1
	s_or_b64 exec, exec, s[34:35]
	s_waitcnt vmcnt(0)
	ds_write_b32 v62, v0
	v_mov_b32_e32 v0, 0
	v_mov_b32_e32 v1, 0
	s_and_saveexec_b64 s[34:35], s[24:25]
	s_cbranch_execz .LBB34_237
; %bb.236:                              ;   in Loop: Header=BB34_3 Depth=1
	v_add_co_u32_e32 v2, vcc, v22, v34
	v_addc_co_u32_e32 v3, vcc, 0, v23, vcc
	global_load_dword v1, v[2:3], off
.LBB34_237:                             ;   in Loop: Header=BB34_3 Depth=1
	s_or_b64 exec, exec, s[34:35]
	s_waitcnt vmcnt(0)
	ds_write_b32 v56, v1 offset:128
	s_and_saveexec_b64 s[34:35], s[26:27]
	s_cbranch_execz .LBB34_239
; %bb.238:                              ;   in Loop: Header=BB34_3 Depth=1
	v_add_co_u32_e32 v0, vcc, v20, v34
	v_addc_co_u32_e32 v1, vcc, 0, v21, vcc
	global_load_dword v0, v[0:1], off
.LBB34_239:                             ;   in Loop: Header=BB34_3 Depth=1
	s_or_b64 exec, exec, s[34:35]
	s_waitcnt vmcnt(0)
	ds_write_b32 v65, v0
	v_mov_b32_e32 v0, 0
	v_mov_b32_e32 v1, 0
	s_and_saveexec_b64 s[34:35], s[28:29]
	s_cbranch_execz .LBB34_241
; %bb.240:                              ;   in Loop: Header=BB34_3 Depth=1
	v_add_co_u32_e32 v2, vcc, v18, v34
	v_addc_co_u32_e32 v3, vcc, 0, v19, vcc
	global_load_dword v1, v[2:3], off
.LBB34_241:                             ;   in Loop: Header=BB34_3 Depth=1
	s_or_b64 exec, exec, s[34:35]
	s_waitcnt vmcnt(0)
	ds_write_b32 v67, v1
	s_and_saveexec_b64 s[34:35], s[30:31]
	s_cbranch_execz .LBB34_2
; %bb.242:                              ;   in Loop: Header=BB34_3 Depth=1
	v_add_co_u32_e32 v0, vcc, v16, v34
	v_addc_co_u32_e32 v1, vcc, 0, v17, vcc
	global_load_dword v0, v[0:1], off
	s_branch .LBB34_2
.LBB34_243:
                                        ; implicit-def: $vgpr45
                                        ; implicit-def: $vgpr43
                                        ; implicit-def: $vgpr41
                                        ; implicit-def: $vgpr37
                                        ; implicit-def: $vgpr39
                                        ; implicit-def: $vgpr33
                                        ; implicit-def: $vgpr15
                                        ; implicit-def: $vgpr13
                                        ; implicit-def: $vgpr35
                                        ; implicit-def: $vgpr51
	s_cbranch_execnz .LBB34_245
	s_branch .LBB34_246
.LBB34_244:
	s_branch .LBB34_246
.LBB34_245:
	v_mov_b32_e32 v12, 0
	v_mov_b32_e32 v51, v53
	;; [unrolled: 1-line block ×18, first 2 shown]
.LBB34_246:
	s_lshr_b32 s16, s48, 2
	s_cmp_lg_u32 s49, 0
	v_add_u32_e32 v5, s33, v35
	v_or_b32_e32 v4, s56, v51
	s_cselect_b64 s[0:1], -1, 0
	v_cmp_gt_u32_e64 s[10:11], s40, v5
	v_cmp_gt_u32_e64 s[2:3], s42, v4
	v_cndmask_b32_e64 v1, 0, 1, s[0:1]
	v_add_u32_e32 v0, s16, v5
	s_and_b64 s[4:5], s[10:11], s[2:3]
	v_cmp_ne_u32_e64 s[0:1], 1, v1
	s_and_saveexec_b64 s[6:7], s[4:5]
	s_cbranch_execz .LBB34_250
; %bb.247:
	v_mad_u64_u32 v[2:3], s[4:5], v4, s40, v[0:1]
	v_mov_b32_e32 v3, 0
	v_lshlrev_b64 v[2:3], 2, v[2:3]
	v_mov_b32_e32 v1, s39
	v_add_co_u32_e64 v2, s[4:5], s38, v2
	s_and_b64 vcc, exec, s[0:1]
	v_addc_co_u32_e64 v3, s[4:5], v1, v3, s[4:5]
	s_cbranch_vccnz .LBB34_249
; %bb.248:
	global_load_dword v1, v[2:3], off
	s_waitcnt vmcnt(0)
	v_add_f32_e32 v44, v44, v1
.LBB34_249:
	global_store_dword v[2:3], v44, off
.LBB34_250:
	s_or_b64 exec, exec, s[6:7]
	v_or_b32_e32 v6, 1, v4
	v_cmp_gt_u32_e64 s[4:5], s42, v6
	s_and_b64 s[6:7], s[10:11], s[4:5]
	s_and_saveexec_b64 s[8:9], s[6:7]
	s_cbranch_execz .LBB34_254
; %bb.251:
	v_mad_u64_u32 v[2:3], s[6:7], v6, s40, v[0:1]
	v_mov_b32_e32 v3, 0
	v_lshlrev_b64 v[2:3], 2, v[2:3]
	v_mov_b32_e32 v1, s39
	v_add_co_u32_e64 v2, s[6:7], s38, v2
	s_and_b64 vcc, exec, s[0:1]
	v_addc_co_u32_e64 v3, s[6:7], v1, v3, s[6:7]
	s_cbranch_vccnz .LBB34_253
; %bb.252:
	global_load_dword v1, v[2:3], off
	s_waitcnt vmcnt(0)
	v_add_f32_e32 v45, v45, v1
.LBB34_253:
	global_store_dword v[2:3], v45, off
.LBB34_254:
	s_or_b64 exec, exec, s[8:9]
	v_or_b32_e32 v7, 2, v4
	v_cmp_gt_u32_e64 s[6:7], s42, v7
	s_and_b64 s[8:9], s[10:11], s[6:7]
	;; [unrolled: 22-line block ×3, first 2 shown]
	s_and_saveexec_b64 s[12:13], s[10:11]
	s_cbranch_execz .LBB34_262
; %bb.259:
	v_mad_u64_u32 v[0:1], s[10:11], v8, s40, v[0:1]
	v_mov_b32_e32 v1, 0
	v_lshlrev_b64 v[0:1], 2, v[0:1]
	v_mov_b32_e32 v2, s39
	v_add_co_u32_e64 v0, s[10:11], s38, v0
	s_and_b64 vcc, exec, s[0:1]
	v_addc_co_u32_e64 v1, s[10:11], v2, v1, s[10:11]
	s_cbranch_vccnz .LBB34_261
; %bb.260:
	global_load_dword v2, v[0:1], off
	s_waitcnt vmcnt(0)
	v_add_f32_e32 v43, v43, v2
.LBB34_261:
	global_store_dword v[0:1], v43, off
.LBB34_262:
	s_or_b64 exec, exec, s[12:13]
	v_or_b32_e32 v0, 1, v5
	v_cmp_gt_u32_e64 s[10:11], s40, v0
	v_add_u32_e32 v0, s16, v0
	s_and_b64 s[12:13], s[10:11], s[2:3]
	s_and_saveexec_b64 s[14:15], s[12:13]
	s_cbranch_execnz .LBB34_266
; %bb.263:
	s_or_b64 exec, exec, s[14:15]
	s_and_b64 s[12:13], s[10:11], s[4:5]
	s_and_saveexec_b64 s[14:15], s[12:13]
	s_cbranch_execnz .LBB34_269
.LBB34_264:
	s_or_b64 exec, exec, s[14:15]
	s_and_b64 s[12:13], s[10:11], s[6:7]
	s_and_saveexec_b64 s[14:15], s[12:13]
	s_cbranch_execnz .LBB34_272
.LBB34_265:
	s_or_b64 exec, exec, s[14:15]
	s_and_b64 s[10:11], s[10:11], s[8:9]
	s_and_saveexec_b64 s[12:13], s[10:11]
	s_cbranch_execnz .LBB34_275
	s_branch .LBB34_278
.LBB34_266:
	v_mad_u64_u32 v[2:3], s[12:13], v4, s40, v[0:1]
	v_mov_b32_e32 v3, 0
	v_lshlrev_b64 v[2:3], 2, v[2:3]
	v_mov_b32_e32 v1, s39
	v_add_co_u32_e64 v2, s[12:13], s38, v2
	s_and_b64 vcc, exec, s[0:1]
	v_addc_co_u32_e64 v3, s[12:13], v1, v3, s[12:13]
	s_cbranch_vccnz .LBB34_268
; %bb.267:
	global_load_dword v1, v[2:3], off
	s_waitcnt vmcnt(0)
	v_add_f32_e32 v40, v40, v1
.LBB34_268:
	global_store_dword v[2:3], v40, off
	s_or_b64 exec, exec, s[14:15]
	s_and_b64 s[12:13], s[10:11], s[4:5]
	s_and_saveexec_b64 s[14:15], s[12:13]
	s_cbranch_execz .LBB34_264
.LBB34_269:
	v_mad_u64_u32 v[2:3], s[12:13], v6, s40, v[0:1]
	v_mov_b32_e32 v3, 0
	v_lshlrev_b64 v[2:3], 2, v[2:3]
	v_mov_b32_e32 v1, s39
	v_add_co_u32_e64 v2, s[12:13], s38, v2
	s_and_b64 vcc, exec, s[0:1]
	v_addc_co_u32_e64 v3, s[12:13], v1, v3, s[12:13]
	s_cbranch_vccnz .LBB34_271
; %bb.270:
	global_load_dword v1, v[2:3], off
	s_waitcnt vmcnt(0)
	v_add_f32_e32 v41, v41, v1
.LBB34_271:
	global_store_dword v[2:3], v41, off
	s_or_b64 exec, exec, s[14:15]
	s_and_b64 s[12:13], s[10:11], s[6:7]
	s_and_saveexec_b64 s[14:15], s[12:13]
	s_cbranch_execz .LBB34_265
.LBB34_272:
	v_mad_u64_u32 v[2:3], s[12:13], v7, s40, v[0:1]
	v_mov_b32_e32 v3, 0
	v_lshlrev_b64 v[2:3], 2, v[2:3]
	v_mov_b32_e32 v1, s39
	v_add_co_u32_e64 v2, s[12:13], s38, v2
	s_and_b64 vcc, exec, s[0:1]
	v_addc_co_u32_e64 v3, s[12:13], v1, v3, s[12:13]
	s_cbranch_vccnz .LBB34_274
; %bb.273:
	global_load_dword v1, v[2:3], off
	s_waitcnt vmcnt(0)
	v_add_f32_e32 v36, v36, v1
.LBB34_274:
	global_store_dword v[2:3], v36, off
	s_or_b64 exec, exec, s[14:15]
	s_and_b64 s[10:11], s[10:11], s[8:9]
	s_and_saveexec_b64 s[12:13], s[10:11]
	s_cbranch_execz .LBB34_278
.LBB34_275:
	v_mad_u64_u32 v[0:1], s[10:11], v8, s40, v[0:1]
	v_mov_b32_e32 v1, 0
	v_lshlrev_b64 v[0:1], 2, v[0:1]
	v_mov_b32_e32 v2, s39
	v_add_co_u32_e64 v0, s[10:11], s38, v0
	s_and_b64 vcc, exec, s[0:1]
	v_addc_co_u32_e64 v1, s[10:11], v2, v1, s[10:11]
	s_cbranch_vccnz .LBB34_277
; %bb.276:
	global_load_dword v2, v[0:1], off
	s_waitcnt vmcnt(0)
	v_add_f32_e32 v37, v37, v2
.LBB34_277:
	global_store_dword v[0:1], v37, off
.LBB34_278:
	s_or_b64 exec, exec, s[12:13]
	v_or_b32_e32 v0, 2, v5
	v_cmp_gt_u32_e64 s[10:11], s40, v0
	v_add_u32_e32 v0, s16, v0
	s_and_b64 s[12:13], s[10:11], s[2:3]
	s_and_saveexec_b64 s[14:15], s[12:13]
	s_cbranch_execnz .LBB34_282
; %bb.279:
	s_or_b64 exec, exec, s[14:15]
	s_and_b64 s[12:13], s[10:11], s[4:5]
	s_and_saveexec_b64 s[14:15], s[12:13]
	s_cbranch_execnz .LBB34_285
.LBB34_280:
	s_or_b64 exec, exec, s[14:15]
	s_and_b64 s[12:13], s[10:11], s[6:7]
	s_and_saveexec_b64 s[14:15], s[12:13]
	s_cbranch_execnz .LBB34_288
.LBB34_281:
	s_or_b64 exec, exec, s[14:15]
	s_and_b64 s[10:11], s[10:11], s[8:9]
	s_and_saveexec_b64 s[12:13], s[10:11]
	s_cbranch_execnz .LBB34_291
	s_branch .LBB34_294
.LBB34_282:
	v_mad_u64_u32 v[2:3], s[12:13], v4, s40, v[0:1]
	v_mov_b32_e32 v3, 0
	v_lshlrev_b64 v[2:3], 2, v[2:3]
	v_mov_b32_e32 v1, s39
	v_add_co_u32_e64 v2, s[12:13], s38, v2
	s_and_b64 vcc, exec, s[0:1]
	v_addc_co_u32_e64 v3, s[12:13], v1, v3, s[12:13]
	s_cbranch_vccnz .LBB34_284
; %bb.283:
	global_load_dword v1, v[2:3], off
	s_waitcnt vmcnt(0)
	v_add_f32_e32 v38, v38, v1
.LBB34_284:
	global_store_dword v[2:3], v38, off
	s_or_b64 exec, exec, s[14:15]
	s_and_b64 s[12:13], s[10:11], s[4:5]
	s_and_saveexec_b64 s[14:15], s[12:13]
	s_cbranch_execz .LBB34_280
.LBB34_285:
	v_mad_u64_u32 v[2:3], s[12:13], v6, s40, v[0:1]
	v_mov_b32_e32 v3, 0
	v_lshlrev_b64 v[2:3], 2, v[2:3]
	v_mov_b32_e32 v1, s39
	v_add_co_u32_e64 v2, s[12:13], s38, v2
	s_and_b64 vcc, exec, s[0:1]
	v_addc_co_u32_e64 v3, s[12:13], v1, v3, s[12:13]
	s_cbranch_vccnz .LBB34_287
; %bb.286:
	global_load_dword v1, v[2:3], off
	s_waitcnt vmcnt(0)
	v_add_f32_e32 v39, v39, v1
.LBB34_287:
	global_store_dword v[2:3], v39, off
	s_or_b64 exec, exec, s[14:15]
	s_and_b64 s[12:13], s[10:11], s[6:7]
	s_and_saveexec_b64 s[14:15], s[12:13]
	s_cbranch_execz .LBB34_281
.LBB34_288:
	v_mad_u64_u32 v[2:3], s[12:13], v7, s40, v[0:1]
	v_mov_b32_e32 v3, 0
	v_lshlrev_b64 v[2:3], 2, v[2:3]
	v_mov_b32_e32 v1, s39
	v_add_co_u32_e64 v2, s[12:13], s38, v2
	s_and_b64 vcc, exec, s[0:1]
	v_addc_co_u32_e64 v3, s[12:13], v1, v3, s[12:13]
	s_cbranch_vccnz .LBB34_290
; %bb.289:
	global_load_dword v1, v[2:3], off
	s_waitcnt vmcnt(0)
	v_add_f32_e32 v32, v32, v1
.LBB34_290:
	global_store_dword v[2:3], v32, off
	s_or_b64 exec, exec, s[14:15]
	s_and_b64 s[10:11], s[10:11], s[8:9]
	s_and_saveexec_b64 s[12:13], s[10:11]
	s_cbranch_execz .LBB34_294
.LBB34_291:
	v_mad_u64_u32 v[0:1], s[10:11], v8, s40, v[0:1]
	v_mov_b32_e32 v1, 0
	v_lshlrev_b64 v[0:1], 2, v[0:1]
	v_mov_b32_e32 v2, s39
	v_add_co_u32_e64 v0, s[10:11], s38, v0
	s_and_b64 vcc, exec, s[0:1]
	v_addc_co_u32_e64 v1, s[10:11], v2, v1, s[10:11]
	s_cbranch_vccnz .LBB34_293
; %bb.292:
	global_load_dword v2, v[0:1], off
	s_waitcnt vmcnt(0)
	v_add_f32_e32 v33, v33, v2
.LBB34_293:
	global_store_dword v[0:1], v33, off
.LBB34_294:
	s_or_b64 exec, exec, s[12:13]
	v_or_b32_e32 v0, 3, v5
	v_cmp_gt_u32_e64 s[10:11], s40, v0
	v_add_u32_e32 v0, s16, v0
	s_and_b64 s[2:3], s[10:11], s[2:3]
	s_and_saveexec_b64 s[12:13], s[2:3]
	s_cbranch_execnz .LBB34_299
; %bb.295:
	s_or_b64 exec, exec, s[12:13]
	s_and_b64 s[2:3], s[10:11], s[4:5]
	s_and_saveexec_b64 s[4:5], s[2:3]
	s_cbranch_execnz .LBB34_302
.LBB34_296:
	s_or_b64 exec, exec, s[4:5]
	s_and_b64 s[2:3], s[10:11], s[6:7]
	s_and_saveexec_b64 s[4:5], s[2:3]
	s_cbranch_execnz .LBB34_305
.LBB34_297:
	s_or_b64 exec, exec, s[4:5]
	s_and_b64 s[2:3], s[10:11], s[8:9]
	s_and_saveexec_b64 s[4:5], s[2:3]
	s_cbranch_execnz .LBB34_308
.LBB34_298:
	s_endpgm
.LBB34_299:
	v_mad_u64_u32 v[2:3], s[2:3], v4, s40, v[0:1]
	v_mov_b32_e32 v3, 0
	v_lshlrev_b64 v[2:3], 2, v[2:3]
	v_mov_b32_e32 v1, s39
	v_add_co_u32_e64 v2, s[2:3], s38, v2
	s_and_b64 vcc, exec, s[0:1]
	v_addc_co_u32_e64 v3, s[2:3], v1, v3, s[2:3]
	s_cbranch_vccnz .LBB34_301
; %bb.300:
	global_load_dword v1, v[2:3], off
	s_waitcnt vmcnt(0)
	v_add_f32_e32 v14, v14, v1
.LBB34_301:
	global_store_dword v[2:3], v14, off
	s_or_b64 exec, exec, s[12:13]
	s_and_b64 s[2:3], s[10:11], s[4:5]
	s_and_saveexec_b64 s[4:5], s[2:3]
	s_cbranch_execz .LBB34_296
.LBB34_302:
	v_mad_u64_u32 v[2:3], s[2:3], v6, s40, v[0:1]
	v_mov_b32_e32 v3, 0
	v_lshlrev_b64 v[2:3], 2, v[2:3]
	v_mov_b32_e32 v1, s39
	v_add_co_u32_e64 v2, s[2:3], s38, v2
	s_and_b64 vcc, exec, s[0:1]
	v_addc_co_u32_e64 v3, s[2:3], v1, v3, s[2:3]
	s_cbranch_vccnz .LBB34_304
; %bb.303:
	global_load_dword v1, v[2:3], off
	s_waitcnt vmcnt(0)
	v_add_f32_e32 v15, v15, v1
.LBB34_304:
	global_store_dword v[2:3], v15, off
	s_or_b64 exec, exec, s[4:5]
	s_and_b64 s[2:3], s[10:11], s[6:7]
	s_and_saveexec_b64 s[4:5], s[2:3]
	s_cbranch_execz .LBB34_297
.LBB34_305:
	v_mad_u64_u32 v[2:3], s[2:3], v7, s40, v[0:1]
	v_mov_b32_e32 v3, 0
	v_lshlrev_b64 v[2:3], 2, v[2:3]
	v_mov_b32_e32 v1, s39
	v_add_co_u32_e64 v2, s[2:3], s38, v2
	s_and_b64 vcc, exec, s[0:1]
	v_addc_co_u32_e64 v3, s[2:3], v1, v3, s[2:3]
	s_cbranch_vccnz .LBB34_307
; %bb.306:
	global_load_dword v1, v[2:3], off
	s_waitcnt vmcnt(0)
	v_add_f32_e32 v12, v12, v1
.LBB34_307:
	global_store_dword v[2:3], v12, off
	s_or_b64 exec, exec, s[4:5]
	s_and_b64 s[2:3], s[10:11], s[8:9]
	s_and_saveexec_b64 s[4:5], s[2:3]
	s_cbranch_execz .LBB34_298
.LBB34_308:
	v_mad_u64_u32 v[0:1], s[2:3], v8, s40, v[0:1]
	v_mov_b32_e32 v1, 0
	v_lshlrev_b64 v[0:1], 2, v[0:1]
	v_mov_b32_e32 v2, s39
	s_and_b64 vcc, exec, s[0:1]
	v_add_co_u32_e64 v0, s[0:1], s38, v0
	v_addc_co_u32_e64 v1, s[0:1], v2, v1, s[0:1]
	s_cbranch_vccnz .LBB34_310
; %bb.309:
	global_load_dword v2, v[0:1], off
	s_waitcnt vmcnt(0)
	v_add_f32_e32 v13, v13, v2
.LBB34_310:
	global_store_dword v[0:1], v13, off
	s_endpgm
	.section	.rodata,"a",@progbits
	.p2align	6, 0x0
	.amdhsa_kernel gemm_q4k_tiled_v2
		.amdhsa_group_segment_fixed_size 16384
		.amdhsa_private_segment_fixed_size 0
		.amdhsa_kernarg_size 52
		.amdhsa_user_sgpr_count 6
		.amdhsa_user_sgpr_private_segment_buffer 1
		.amdhsa_user_sgpr_dispatch_ptr 0
		.amdhsa_user_sgpr_queue_ptr 0
		.amdhsa_user_sgpr_kernarg_segment_ptr 1
		.amdhsa_user_sgpr_dispatch_id 0
		.amdhsa_user_sgpr_flat_scratch_init 0
		.amdhsa_user_sgpr_kernarg_preload_length 0
		.amdhsa_user_sgpr_kernarg_preload_offset 0
		.amdhsa_user_sgpr_private_segment_size 0
		.amdhsa_uses_dynamic_stack 0
		.amdhsa_system_sgpr_private_segment_wavefront_offset 0
		.amdhsa_system_sgpr_workgroup_id_x 1
		.amdhsa_system_sgpr_workgroup_id_y 1
		.amdhsa_system_sgpr_workgroup_id_z 0
		.amdhsa_system_sgpr_workgroup_info 0
		.amdhsa_system_vgpr_workitem_id 0
		.amdhsa_next_free_vgpr 90
		.amdhsa_next_free_sgpr 65
		.amdhsa_accum_offset 92
		.amdhsa_reserve_vcc 1
		.amdhsa_reserve_flat_scratch 0
		.amdhsa_float_round_mode_32 0
		.amdhsa_float_round_mode_16_64 0
		.amdhsa_float_denorm_mode_32 3
		.amdhsa_float_denorm_mode_16_64 3
		.amdhsa_dx10_clamp 1
		.amdhsa_ieee_mode 1
		.amdhsa_fp16_overflow 0
		.amdhsa_tg_split 0
		.amdhsa_exception_fp_ieee_invalid_op 0
		.amdhsa_exception_fp_denorm_src 0
		.amdhsa_exception_fp_ieee_div_zero 0
		.amdhsa_exception_fp_ieee_overflow 0
		.amdhsa_exception_fp_ieee_underflow 0
		.amdhsa_exception_fp_ieee_inexact 0
		.amdhsa_exception_int_div_zero 0
	.end_amdhsa_kernel
	.text
.Lfunc_end34:
	.size	gemm_q4k_tiled_v2, .Lfunc_end34-gemm_q4k_tiled_v2
                                        ; -- End function
	.section	.AMDGPU.csdata,"",@progbits
; Kernel info:
; codeLenInByte = 11428
; NumSgprs: 69
; NumVgprs: 90
; NumAgprs: 0
; TotalNumVgprs: 90
; ScratchSize: 0
; MemoryBound: 0
; FloatMode: 240
; IeeeMode: 1
; LDSByteSize: 16384 bytes/workgroup (compile time only)
; SGPRBlocks: 8
; VGPRBlocks: 11
; NumSGPRsForWavesPerEU: 69
; NumVGPRsForWavesPerEU: 90
; AccumOffset: 92
; Occupancy: 5
; WaveLimiterHint : 0
; COMPUTE_PGM_RSRC2:SCRATCH_EN: 0
; COMPUTE_PGM_RSRC2:USER_SGPR: 6
; COMPUTE_PGM_RSRC2:TRAP_HANDLER: 0
; COMPUTE_PGM_RSRC2:TGID_X_EN: 1
; COMPUTE_PGM_RSRC2:TGID_Y_EN: 1
; COMPUTE_PGM_RSRC2:TGID_Z_EN: 0
; COMPUTE_PGM_RSRC2:TIDIG_COMP_CNT: 0
; COMPUTE_PGM_RSRC3_GFX90A:ACCUM_OFFSET: 22
; COMPUTE_PGM_RSRC3_GFX90A:TG_SPLIT: 0
	.text
	.protected	gemm_q6k_tiled_v2       ; -- Begin function gemm_q6k_tiled_v2
	.globl	gemm_q6k_tiled_v2
	.p2align	8
	.type	gemm_q6k_tiled_v2,@function
gemm_q6k_tiled_v2:                      ; @gemm_q6k_tiled_v2
; %bb.0:
	s_load_dwordx4 s[40:43], s[4:5], 0x0
	s_load_dwordx2 s[34:35], s[4:5], 0x10
	s_load_dwordx4 s[36:39], s[4:5], 0x18
	s_load_dwordx2 s[44:45], s[4:5], 0x2c
	v_and_b32_e32 v1, 15, v0
	s_lshl_b32 s33, s6, 6
	s_waitcnt lgkmcnt(0)
	s_lshl_b32 s39, s7, 6
	v_lshrrev_b32_e32 v2, 4, v0
	s_cmp_gt_u32 s37, 31
	v_lshlrev_b32_e32 v51, 2, v2
	v_lshlrev_b32_e32 v69, 2, v1
	s_cbranch_scc0 .LBB35_203
; %bb.1:
	v_and_b32_e32 v32, 31, v0
	v_lshlrev_b32_e32 v3, 6, v32
	v_lshrrev_b32_e32 v4, 5, v0
	v_or_b32_e32 v6, v4, v3
	v_lshlrev_b32_e32 v88, 2, v6
	v_add_u32_e32 v6, 0x100, v0
	v_lshrrev_b32_e32 v6, 5, v6
	v_or_b32_e32 v8, v6, v3
	v_lshlrev_b32_e32 v89, 2, v8
	v_add_u32_e32 v8, 0x200, v0
	v_lshrrev_b32_e32 v8, 5, v8
	s_load_dwordx2 s[46:47], s[4:5], 0x24
	v_or_b32_e32 v10, v8, v3
	v_bfe_u32 v87, v0, 4, 1
	v_lshlrev_b32_e32 v90, 2, v10
	v_add_u32_e32 v10, 0x300, v0
	v_add_u32_e32 v14, 0x500, v0
	;; [unrolled: 1-line block ×4, first 2 shown]
	v_lshrrev_b32_e32 v10, 5, v10
	v_lshrrev_b32_e32 v14, 5, v14
	;; [unrolled: 1-line block ×4, first 2 shown]
	v_or_b32_e32 v12, v10, v3
	v_add_lshl_u32 v92, v14, v3, 2
	v_add_lshl_u32 v93, v16, v3, 2
	;; [unrolled: 1-line block ×3, first 2 shown]
	v_or_b32_e32 v3, s39, v4
	s_lshr_b32 s50, s37, 5
	s_lshr_b32 s0, s37, 8
	v_cmp_gt_u32_e64 s[16:17], s38, v3
	v_or_b32_e32 v3, s39, v6
	s_waitcnt lgkmcnt(0)
	s_add_u32 s52, s40, s46
	v_cmp_gt_u32_e64 s[18:19], s38, v3
	v_or_b32_e32 v3, s39, v8
	s_addc_u32 s53, s41, 0
	v_lshlrev_b32_e32 v91, 2, v12
	v_or_b32_e32 v12, 32, v4
	v_add_u32_e32 v18, s33, v0
	v_cmp_gt_u32_e64 s[20:21], s38, v3
	v_or_b32_e32 v3, s39, v10
	v_add_u32_e32 v0, s39, v0
	s_and_b32 s41, s47, -4
	v_lshlrev_b32_e32 v86, 2, v1
	v_cmp_gt_u32_e64 s[22:23], s38, v3
	v_or_b32_e32 v3, s39, v12
	v_cmp_gt_u32_e64 s[30:31], s38, v0
	v_lshlrev_b32_e32 v96, 4, v1
	v_mad_u64_u32 v[0:1], s[48:49], s37, v0, 0
	s_add_u32 s41, s42, s41
	v_add_u32_e32 v15, s33, v14
	v_cmp_gt_u32_e64 s[24:25], s38, v3
	v_add_u32_e32 v3, s39, v14
	v_mov_b32_e32 v14, 0x2000
	v_lshlrev_b64 v[0:1], 2, v[0:1]
	s_addc_u32 s46, s43, 0
	v_lshlrev_b32_e32 v85, 2, v2
	v_or_b32_e32 v13, s33, v12
	v_add_u32_e32 v12, s39, v16
	v_lshl_or_b32 v95, v2, 4, v14
	v_mov_b32_e32 v2, s46
	v_add_co_u32_e32 v36, vcc, s41, v0
	v_addc_co_u32_e32 v33, vcc, v2, v1, vcc
	v_mad_u64_u32 v[0:1], s[42:43], s37, v12, 0
	v_lshlrev_b64 v[0:1], 2, v[0:1]
	v_add_co_u32_e32 v38, vcc, s41, v0
	v_addc_co_u32_e32 v37, vcc, v2, v1, vcc
	v_mad_u64_u32 v[0:1], s[42:43], s37, v3, 0
	v_lshlrev_b64 v[0:1], 2, v[0:1]
	v_add_co_u32_e32 v40, vcc, s41, v0
	v_addc_co_u32_e32 v39, vcc, v2, v1, vcc
	v_add_u32_e32 v2, s39, v4
	v_add_u32_e32 v0, 32, v2
	v_mad_u64_u32 v[0:1], s[42:43], s37, v0, 0
	v_lshlrev_b64 v[0:1], 2, v[0:1]
	v_cmp_gt_u32_e64 s[26:27], s38, v3
	v_mov_b32_e32 v3, s46
	v_add_co_u32_e32 v42, vcc, s41, v0
	v_add_u32_e32 v0, s39, v10
	v_addc_co_u32_e32 v41, vcc, v3, v1, vcc
	v_mad_u64_u32 v[0:1], s[42:43], s37, v0, 0
	v_lshlrev_b64 v[0:1], 2, v[0:1]
	v_add_co_u32_e32 v44, vcc, s41, v0
	v_add_u32_e32 v0, s39, v8
	v_addc_co_u32_e32 v43, vcc, v3, v1, vcc
	v_mad_u64_u32 v[0:1], s[42:43], s37, v0, 0
	v_lshlrev_b64 v[0:1], 2, v[0:1]
	;; [unrolled: 5-line block ×3, first 2 shown]
	v_add_co_u32_e32 v48, vcc, s41, v0
	v_addc_co_u32_e32 v47, vcc, v3, v1, vcc
	v_mad_u64_u32 v[0:1], s[42:43], s37, v2, 0
	v_lshlrev_b64 v[0:1], 2, v[0:1]
	s_mul_i32 s40, s0, 0xd2
	v_mov_b32_e32 v35, 0
	v_or_b32_e32 v5, s33, v4
	v_or_b32_e32 v7, s33, v6
	v_or_b32_e32 v9, s33, v8
	v_or_b32_e32 v11, s33, v10
	v_add_u32_e32 v17, s33, v16
	v_mov_b32_e32 v2, s46
	v_add_co_u32_e32 v50, vcc, s41, v0
	s_mov_b32 s51, 0
	v_cmp_gt_u32_e64 s[0:1], s36, v5
	v_cmp_gt_u32_e64 s[2:3], s36, v7
	;; [unrolled: 1-line block ×9, first 2 shown]
	v_addc_co_u32_e32 v49, vcc, v2, v1, vcc
	s_mov_b32 s37, 0x6050400
	s_mov_b32 s54, 0x7f800000
	;; [unrolled: 1-line block ×3, first 2 shown]
	s_movk_i32 s56, 0x80
	v_mov_b32_e32 v34, v35
	v_mov_b32_e32 v73, v35
	;; [unrolled: 1-line block ×15, first 2 shown]
	v_or_b32_e32 v97, 6, v87
	v_or_b32_e32 v98, 4, v87
	;; [unrolled: 1-line block ×3, first 2 shown]
	v_mad_u64_u32 v[52:53], s[42:43], s40, v5, 0
	v_or_b32_e32 v100, 0x2000, v88
	v_mad_u64_u32 v[54:55], s[42:43], s40, v7, 0
	v_or_b32_e32 v101, 0x2000, v89
	;; [unrolled: 2-line block ×4, first 2 shown]
	v_mad_u64_u32 v[60:61], s[42:43], s40, v13, 0
	v_mad_u64_u32 v[62:63], s[42:43], s40, v15, 0
	v_add_u32_e32 v104, 0x2000, v92
	v_mad_u64_u32 v[64:65], s[42:43], s40, v17, 0
	v_add_u32_e32 v105, 0x2000, v93
	;; [unrolled: 2-line block ×3, first 2 shown]
	v_not_b32_e32 v107, 23
	v_lshlrev_b32_e32 v68, 2, v32
	s_branch .LBB35_3
.LBB35_2:                               ;   in Loop: Header=BB35_3 Depth=1
	s_or_b64 exec, exec, s[40:41]
	s_waitcnt vmcnt(0)
	ds_write_b32 v94, v0
	s_waitcnt lgkmcnt(0)
	s_barrier
	ds_read_b128 v[12:15], v96
	ds_read_b128 v[80:83], v95
	ds_read_b128 v[16:19], v95 offset:256
	ds_read_b128 v[24:27], v96 offset:256
	;; [unrolled: 1-line block ×6, first 2 shown]
	v_add_co_u32_e32 v36, vcc, s56, v36
	s_waitcnt lgkmcnt(6)
	v_fmac_f32_e32 v78, v80, v12
	v_fmac_f32_e32 v79, v80, v13
	v_fmac_f32_e32 v76, v80, v14
	v_fmac_f32_e32 v77, v80, v15
	v_mov_b32_e32 v80, v83
	v_fmac_f32_e32 v74, v81, v12
	v_fmac_f32_e32 v75, v81, v13
	;; [unrolled: 1-line block ×8, first 2 shown]
	v_pk_fma_f32 v[30:31], v[80:81], v[12:13], v[30:31] op_sel_hi:[0,1,1]
	v_pk_fma_f32 v[28:29], v[80:81], v[14:15], v[28:29] op_sel_hi:[0,1,1]
	ds_read_b128 v[80:83], v96 offset:512
	s_waitcnt lgkmcnt(6)
	v_mov_b32_e32 v84, v19
	s_waitcnt lgkmcnt(5)
	v_fmac_f32_e32 v78, v16, v24
	v_fmac_f32_e32 v79, v16, v25
	v_fmac_f32_e32 v74, v17, v24
	v_fmac_f32_e32 v75, v17, v25
	v_fmac_f32_e32 v72, v18, v24
	v_fmac_f32_e32 v73, v18, v25
	v_fmac_f32_e32 v76, v16, v26
	v_fmac_f32_e32 v77, v16, v27
	v_fmac_f32_e32 v70, v17, v26
	v_fmac_f32_e32 v71, v17, v27
	v_fmac_f32_e32 v34, v18, v26
	v_fmac_f32_e32 v35, v18, v27
	ds_read_b128 v[16:19], v95 offset:1536
	ds_read_b128 v[12:15], v95 offset:1792
	v_pk_fma_f32 v[30:31], v[84:85], v[24:25], v[30:31] op_sel_hi:[0,1,1]
	v_pk_fma_f32 v[28:29], v[84:85], v[26:27], v[28:29] op_sel_hi:[0,1,1]
	ds_read_b128 v[24:27], v96 offset:768
	s_waitcnt lgkmcnt(3)
	v_fmac_f32_e32 v78, v20, v80
	v_fmac_f32_e32 v79, v20, v81
	;; [unrolled: 1-line block ×4, first 2 shown]
	v_mov_b32_e32 v20, v23
	v_fmac_f32_e32 v74, v21, v80
	v_fmac_f32_e32 v75, v21, v81
	;; [unrolled: 1-line block ×8, first 2 shown]
	v_pk_fma_f32 v[80:81], v[20:21], v[80:81], v[30:31] op_sel_hi:[0,1,1]
	v_pk_fma_f32 v[82:83], v[20:21], v[82:83], v[28:29] op_sel_hi:[0,1,1]
	ds_read_b128 v[28:31], v96 offset:1024
	v_mov_b32_e32 v84, v11
	s_waitcnt lgkmcnt(1)
	v_fmac_f32_e32 v78, v8, v24
	v_fmac_f32_e32 v79, v8, v25
	;; [unrolled: 1-line block ×12, first 2 shown]
	ds_read_b128 v[20:23], v95 offset:2048
	ds_read_b128 v[8:11], v95 offset:2304
	v_pk_fma_f32 v[80:81], v[84:85], v[24:25], v[80:81] op_sel_hi:[0,1,1]
	v_pk_fma_f32 v[82:83], v[84:85], v[26:27], v[82:83] op_sel_hi:[0,1,1]
	ds_read_b128 v[24:27], v96 offset:1280
	v_mov_b32_e32 v84, v7
	s_waitcnt lgkmcnt(3)
	v_fmac_f32_e32 v78, v4, v28
	v_fmac_f32_e32 v79, v4, v29
	;; [unrolled: 1-line block ×6, first 2 shown]
	v_pk_fma_f32 v[28:29], v[84:85], v[28:29], v[80:81] op_sel_hi:[0,1,1]
	v_fmac_f32_e32 v76, v4, v30
	v_fmac_f32_e32 v77, v4, v31
	;; [unrolled: 1-line block ×6, first 2 shown]
	ds_read_b128 v[4:7], v96 offset:1536
	v_pk_fma_f32 v[80:81], v[84:85], v[30:31], v[82:83] op_sel_hi:[0,1,1]
	v_mov_b32_e32 v82, v3
	s_waitcnt lgkmcnt(1)
	v_fmac_f32_e32 v78, v0, v24
	v_fmac_f32_e32 v79, v0, v25
	;; [unrolled: 1-line block ×6, first 2 shown]
	v_pk_fma_f32 v[24:25], v[82:83], v[24:25], v[28:29] op_sel_hi:[0,1,1]
	ds_read_b128 v[28:31], v96 offset:1792
	v_mov_b32_e32 v84, v19
	v_fmac_f32_e32 v76, v0, v26
	v_fmac_f32_e32 v77, v0, v27
	;; [unrolled: 1-line block ×6, first 2 shown]
	s_waitcnt lgkmcnt(1)
	v_pk_fma_f32 v[0:1], v[84:85], v[4:5], v[24:25] op_sel_hi:[0,1,1]
	v_mov_b32_e32 v24, v15
	v_fmac_f32_e32 v78, v16, v4
	v_fmac_f32_e32 v79, v16, v5
	;; [unrolled: 1-line block ×6, first 2 shown]
	v_pk_fma_f32 v[4:5], v[82:83], v[26:27], v[80:81] op_sel_hi:[0,1,1]
	v_fmac_f32_e32 v76, v16, v6
	v_fmac_f32_e32 v77, v16, v7
	v_fmac_f32_e32 v70, v17, v6
	v_fmac_f32_e32 v71, v17, v7
	v_fmac_f32_e32 v34, v18, v6
	v_fmac_f32_e32 v35, v18, v7
	ds_read_b128 v[16:19], v96 offset:2304
	s_waitcnt lgkmcnt(1)
	v_pk_fma_f32 v[26:27], v[24:25], v[28:29], v[0:1] op_sel_hi:[0,1,1]
	ds_read_b128 v[0:3], v96 offset:2048
	v_fmac_f32_e32 v78, v12, v28
	v_fmac_f32_e32 v79, v12, v29
	;; [unrolled: 1-line block ×6, first 2 shown]
	v_mov_b32_e32 v28, v23
	s_waitcnt lgkmcnt(0)
	v_fmac_f32_e32 v78, v20, v0
	v_fmac_f32_e32 v79, v20, v1
	;; [unrolled: 1-line block ×6, first 2 shown]
	v_pk_fma_f32 v[0:1], v[28:29], v[0:1], v[26:27] op_sel_hi:[0,1,1]
	v_pk_fma_f32 v[4:5], v[84:85], v[6:7], v[4:5] op_sel_hi:[0,1,1]
	v_mov_b32_e32 v6, v11
	v_pk_fma_f32 v[80:81], v[6:7], v[16:17], v[0:1] op_sel_hi:[0,1,1]
	v_pk_fma_f32 v[0:1], v[24:25], v[30:31], v[4:5] op_sel_hi:[0,1,1]
	v_fmac_f32_e32 v76, v12, v30
	v_fmac_f32_e32 v77, v12, v31
	;; [unrolled: 1-line block ×6, first 2 shown]
	v_pk_fma_f32 v[0:1], v[28:29], v[2:3], v[0:1] op_sel_hi:[0,1,1]
	ds_read_b128 v[28:31], v95 offset:2560
	v_fmac_f32_e32 v76, v20, v2
	v_fmac_f32_e32 v77, v20, v3
	;; [unrolled: 1-line block ×6, first 2 shown]
	ds_read_b128 v[20:23], v95 offset:2816
	v_fmac_f32_e32 v78, v8, v16
	v_fmac_f32_e32 v79, v8, v17
	v_fmac_f32_e32 v74, v9, v16
	v_fmac_f32_e32 v75, v9, v17
	v_fmac_f32_e32 v72, v10, v16
	v_fmac_f32_e32 v73, v10, v17
	v_fmac_f32_e32 v76, v8, v18
	v_fmac_f32_e32 v77, v8, v19
	v_fmac_f32_e32 v70, v9, v18
	v_fmac_f32_e32 v71, v9, v19
	v_fmac_f32_e32 v34, v10, v18
	v_fmac_f32_e32 v35, v10, v19
	v_pk_fma_f32 v[82:83], v[6:7], v[18:19], v[0:1] op_sel_hi:[0,1,1]
	s_waitcnt lgkmcnt(1)
	v_mov_b32_e32 v84, v31
	ds_read_b128 v[24:27], v96 offset:2560
	ds_read_b128 v[16:19], v96 offset:2816
	;; [unrolled: 1-line block ×6, first 2 shown]
	s_waitcnt lgkmcnt(5)
	v_pk_fma_f32 v[72:73], v[30:31], v[24:25], v[72:73] op_sel_hi:[0,1,1]
	v_pk_fma_f32 v[78:79], v[28:29], v[24:25], v[78:79] op_sel_hi:[0,1,1]
	v_pk_fma_f32 v[74:75], v[28:29], v[24:25], v[74:75] op_sel:[1,0,0]
	v_pk_fma_f32 v[34:35], v[30:31], v[26:27], v[34:35] op_sel_hi:[0,1,1]
	v_pk_fma_f32 v[76:77], v[28:29], v[26:27], v[76:77] op_sel_hi:[0,1,1]
	v_pk_fma_f32 v[70:71], v[28:29], v[26:27], v[70:71] op_sel:[1,0,0]
	ds_read_b128 v[28:31], v96 offset:3072
	v_pk_fma_f32 v[80:81], v[84:85], v[24:25], v[80:81] op_sel_hi:[0,1,1]
	v_pk_fma_f32 v[82:83], v[84:85], v[26:27], v[82:83] op_sel_hi:[0,1,1]
	v_mov_b32_e32 v84, v23
	s_waitcnt lgkmcnt(5)
	v_pk_fma_f32 v[72:73], v[22:23], v[16:17], v[72:73] op_sel_hi:[0,1,1]
	v_pk_fma_f32 v[78:79], v[20:21], v[16:17], v[78:79] op_sel_hi:[0,1,1]
	v_pk_fma_f32 v[74:75], v[20:21], v[16:17], v[74:75] op_sel:[1,0,0]
	v_pk_fma_f32 v[34:35], v[22:23], v[18:19], v[34:35] op_sel_hi:[0,1,1]
	v_pk_fma_f32 v[76:77], v[20:21], v[18:19], v[76:77] op_sel_hi:[0,1,1]
	v_pk_fma_f32 v[70:71], v[20:21], v[18:19], v[70:71] op_sel:[1,0,0]
	ds_read_b128 v[20:23], v95 offset:4096
	ds_read_b128 v[24:27], v95 offset:4352
	v_pk_fma_f32 v[80:81], v[84:85], v[16:17], v[80:81] op_sel_hi:[0,1,1]
	v_pk_fma_f32 v[82:83], v[84:85], v[18:19], v[82:83] op_sel_hi:[0,1,1]
	ds_read_b128 v[16:19], v96 offset:3328
	s_waitcnt lgkmcnt(3)
	v_pk_fma_f32 v[72:73], v[14:15], v[28:29], v[72:73] op_sel_hi:[0,1,1]
	v_pk_fma_f32 v[78:79], v[12:13], v[28:29], v[78:79] op_sel_hi:[0,1,1]
	v_pk_fma_f32 v[74:75], v[12:13], v[28:29], v[74:75] op_sel:[1,0,0]
	v_pk_fma_f32 v[34:35], v[14:15], v[30:31], v[34:35] op_sel_hi:[0,1,1]
	v_pk_fma_f32 v[76:77], v[12:13], v[30:31], v[76:77] op_sel_hi:[0,1,1]
	v_pk_fma_f32 v[70:71], v[12:13], v[30:31], v[70:71] op_sel:[1,0,0]
	v_mov_b32_e32 v84, v15
	ds_read_b128 v[12:15], v96 offset:3584
	v_pk_fma_f32 v[80:81], v[84:85], v[28:29], v[80:81] op_sel_hi:[0,1,1]
	v_pk_fma_f32 v[82:83], v[84:85], v[30:31], v[82:83] op_sel_hi:[0,1,1]
	v_mov_b32_e32 v84, v11
	s_waitcnt lgkmcnt(1)
	v_pk_fma_f32 v[72:73], v[10:11], v[16:17], v[72:73] op_sel_hi:[0,1,1]
	v_pk_fma_f32 v[78:79], v[8:9], v[16:17], v[78:79] op_sel_hi:[0,1,1]
	v_pk_fma_f32 v[74:75], v[8:9], v[16:17], v[74:75] op_sel:[1,0,0]
	v_pk_fma_f32 v[34:35], v[10:11], v[18:19], v[34:35] op_sel_hi:[0,1,1]
	v_pk_fma_f32 v[76:77], v[8:9], v[18:19], v[76:77] op_sel_hi:[0,1,1]
	v_pk_fma_f32 v[70:71], v[8:9], v[18:19], v[70:71] op_sel:[1,0,0]
	ds_read_b128 v[8:11], v95 offset:4608
	ds_read_b128 v[28:31], v95 offset:4864
	v_pk_fma_f32 v[80:81], v[84:85], v[16:17], v[80:81] op_sel_hi:[0,1,1]
	v_pk_fma_f32 v[82:83], v[84:85], v[18:19], v[82:83] op_sel_hi:[0,1,1]
	ds_read_b128 v[16:19], v96 offset:3840
	s_waitcnt lgkmcnt(3)
	v_pk_fma_f32 v[78:79], v[4:5], v[12:13], v[78:79] op_sel_hi:[0,1,1]
	v_pk_fma_f32 v[74:75], v[4:5], v[12:13], v[74:75] op_sel:[1,0,0]
	v_pk_fma_f32 v[76:77], v[4:5], v[14:15], v[76:77] op_sel_hi:[0,1,1]
	v_pk_fma_f32 v[70:71], v[4:5], v[14:15], v[70:71] op_sel:[1,0,0]
	v_mov_b32_e32 v4, v7
	v_pk_fma_f32 v[72:73], v[6:7], v[12:13], v[72:73] op_sel_hi:[0,1,1]
	v_pk_fma_f32 v[34:35], v[6:7], v[14:15], v[34:35] op_sel_hi:[0,1,1]
	;; [unrolled: 1-line block ×4, first 2 shown]
	ds_read_b128 v[4:7], v96 offset:4096
	ds_read_b128 v[12:15], v96 offset:4352
	v_mov_b32_e32 v84, v3
	s_waitcnt lgkmcnt(2)
	v_pk_fma_f32 v[72:73], v[2:3], v[16:17], v[72:73] op_sel_hi:[0,1,1]
	v_pk_fma_f32 v[78:79], v[0:1], v[16:17], v[78:79] op_sel_hi:[0,1,1]
	v_pk_fma_f32 v[74:75], v[0:1], v[16:17], v[74:75] op_sel:[1,0,0]
	v_pk_fma_f32 v[34:35], v[2:3], v[18:19], v[34:35] op_sel_hi:[0,1,1]
	v_pk_fma_f32 v[76:77], v[0:1], v[18:19], v[76:77] op_sel_hi:[0,1,1]
	v_pk_fma_f32 v[70:71], v[0:1], v[18:19], v[70:71] op_sel:[1,0,0]
	v_pk_fma_f32 v[16:17], v[84:85], v[16:17], v[80:81] op_sel_hi:[0,1,1]
	ds_read_b128 v[0:3], v96 offset:4608
	ds_read_b128 v[80:83], v96 offset:4864
	s_waitcnt lgkmcnt(3)
	v_pk_fma_f32 v[78:79], v[20:21], v[4:5], v[78:79] op_sel_hi:[0,1,1]
	v_pk_fma_f32 v[74:75], v[20:21], v[4:5], v[74:75] op_sel:[1,0,0]
	v_pk_fma_f32 v[76:77], v[20:21], v[6:7], v[76:77] op_sel_hi:[0,1,1]
	v_pk_fma_f32 v[70:71], v[20:21], v[6:7], v[70:71] op_sel:[1,0,0]
	v_pk_fma_f32 v[72:73], v[22:23], v[4:5], v[72:73] op_sel_hi:[0,1,1]
	v_pk_fma_f32 v[34:35], v[22:23], v[6:7], v[34:35] op_sel_hi:[0,1,1]
	s_waitcnt lgkmcnt(2)
	v_pk_fma_f32 v[78:79], v[24:25], v[12:13], v[78:79] op_sel_hi:[0,1,1]
	v_pk_fma_f32 v[74:75], v[24:25], v[12:13], v[74:75] op_sel:[1,0,0]
	v_pk_fma_f32 v[76:77], v[24:25], v[14:15], v[76:77] op_sel_hi:[0,1,1]
	v_pk_fma_f32 v[24:25], v[24:25], v[14:15], v[70:71] op_sel:[1,0,0]
	v_pk_fma_f32 v[18:19], v[84:85], v[18:19], v[108:109] op_sel_hi:[0,1,1]
	v_pk_fma_f32 v[72:73], v[26:27], v[12:13], v[72:73] op_sel_hi:[0,1,1]
	v_mov_b32_e32 v84, v23
	ds_read_b128 v[20:23], v96 offset:5120
	s_waitcnt lgkmcnt(2)
	v_pk_fma_f32 v[78:79], v[8:9], v[0:1], v[78:79] op_sel_hi:[0,1,1]
	v_pk_fma_f32 v[74:75], v[8:9], v[0:1], v[74:75] op_sel:[1,0,0]
	v_pk_fma_f32 v[34:35], v[26:27], v[14:15], v[34:35] op_sel_hi:[0,1,1]
	v_pk_fma_f32 v[76:77], v[8:9], v[2:3], v[76:77] op_sel_hi:[0,1,1]
	v_pk_fma_f32 v[8:9], v[8:9], v[2:3], v[24:25] op_sel:[1,0,0]
	v_mov_b32_e32 v110, v27
	ds_read_b128 v[24:27], v95 offset:5120
	v_pk_fma_f32 v[4:5], v[84:85], v[4:5], v[16:17] op_sel_hi:[0,1,1]
	v_mov_b32_e32 v112, v11
	v_pk_fma_f32 v[4:5], v[110:111], v[12:13], v[4:5] op_sel_hi:[0,1,1]
	v_pk_fma_f32 v[72:73], v[10:11], v[0:1], v[72:73] op_sel_hi:[0,1,1]
	s_waitcnt lgkmcnt(2)
	v_pk_fma_f32 v[78:79], v[28:29], v[80:81], v[78:79] op_sel_hi:[0,1,1]
	v_pk_fma_f32 v[74:75], v[28:29], v[80:81], v[74:75] op_sel:[1,0,0]
	v_pk_fma_f32 v[34:35], v[10:11], v[2:3], v[34:35] op_sel_hi:[0,1,1]
	v_pk_fma_f32 v[108:109], v[28:29], v[82:83], v[76:77] op_sel_hi:[0,1,1]
	v_pk_fma_f32 v[28:29], v[28:29], v[82:83], v[8:9] op_sel:[1,0,0]
	v_mov_b32_e32 v114, v31
	v_pk_fma_f32 v[6:7], v[84:85], v[6:7], v[18:19] op_sel_hi:[0,1,1]
	ds_read_b128 v[16:19], v95 offset:5376
	ds_read_b128 v[8:11], v96 offset:5376
	v_pk_fma_f32 v[0:1], v[112:113], v[0:1], v[4:5] op_sel_hi:[0,1,1]
	v_pk_fma_f32 v[0:1], v[114:115], v[80:81], v[0:1] op_sel_hi:[0,1,1]
	s_waitcnt lgkmcnt(2)
	v_mov_b32_e32 v4, v27
	v_pk_fma_f32 v[72:73], v[30:31], v[80:81], v[72:73] op_sel_hi:[0,1,1]
	v_pk_fma_f32 v[34:35], v[30:31], v[82:83], v[34:35] op_sel_hi:[0,1,1]
	;; [unrolled: 1-line block ×6, first 2 shown]
	v_pk_fma_f32 v[78:79], v[24:25], v[20:21], v[74:75] op_sel:[1,0,0]
	v_pk_fma_f32 v[76:77], v[26:27], v[20:21], v[72:73] op_sel_hi:[0,1,1]
	v_pk_fma_f32 v[74:75], v[24:25], v[22:23], v[108:109] op_sel_hi:[0,1,1]
	v_pk_fma_f32 v[70:71], v[24:25], v[22:23], v[28:29] op_sel:[1,0,0]
	v_pk_fma_f32 v[28:29], v[26:27], v[22:23], v[34:35] op_sel_hi:[0,1,1]
	v_pk_fma_f32 v[0:1], v[114:115], v[82:83], v[0:1] op_sel_hi:[0,1,1]
	s_waitcnt lgkmcnt(1)
	v_mov_b32_e32 v72, v19
	v_pk_fma_f32 v[34:35], v[4:5], v[22:23], v[0:1] op_sel_hi:[0,1,1]
	ds_read_b128 v[20:23], v96 offset:5632
	ds_read_b128 v[24:27], v95 offset:5632
	;; [unrolled: 1-line block ×5, first 2 shown]
	s_waitcnt lgkmcnt(5)
	v_pk_fma_f32 v[80:81], v[16:17], v[8:9], v[116:117] op_sel_hi:[0,1,1]
	v_pk_fma_f32 v[78:79], v[16:17], v[8:9], v[78:79] op_sel:[1,0,0]
	v_pk_fma_f32 v[82:83], v[18:19], v[8:9], v[76:77] op_sel_hi:[0,1,1]
	v_pk_fma_f32 v[108:109], v[16:17], v[10:11], v[74:75] op_sel_hi:[0,1,1]
	v_pk_fma_f32 v[70:71], v[16:17], v[10:11], v[70:71] op_sel:[1,0,0]
	v_pk_fma_f32 v[110:111], v[18:19], v[10:11], v[28:29] op_sel_hi:[0,1,1]
	ds_read_b128 v[16:19], v95 offset:6656
	ds_read_b128 v[74:77], v95 offset:6912
	v_pk_fma_f32 v[8:9], v[72:73], v[8:9], v[30:31] op_sel_hi:[0,1,1]
	ds_read_b128 v[28:31], v96 offset:5888
	v_pk_fma_f32 v[10:11], v[72:73], v[10:11], v[34:35] op_sel_hi:[0,1,1]
	s_waitcnt lgkmcnt(6)
	v_pk_fma_f32 v[34:35], v[24:25], v[20:21], v[80:81] op_sel_hi:[0,1,1]
	v_pk_fma_f32 v[72:73], v[24:25], v[20:21], v[78:79] op_sel:[1,0,0]
	v_pk_fma_f32 v[78:79], v[26:27], v[20:21], v[82:83] op_sel_hi:[0,1,1]
	v_pk_fma_f32 v[80:81], v[24:25], v[22:23], v[108:109] op_sel_hi:[0,1,1]
	v_pk_fma_f32 v[24:25], v[24:25], v[22:23], v[70:71] op_sel:[1,0,0]
	v_pk_fma_f32 v[70:71], v[26:27], v[22:23], v[110:111] op_sel_hi:[0,1,1]
	v_mov_b32_e32 v26, v27
	v_pk_fma_f32 v[82:83], v[26:27], v[20:21], v[8:9] op_sel_hi:[0,1,1]
	v_pk_fma_f32 v[26:27], v[26:27], v[22:23], v[10:11] op_sel_hi:[0,1,1]
	ds_read_b128 v[20:23], v96 offset:6144
	s_waitcnt lgkmcnt(6)
	v_mov_b32_e32 v84, v15
	s_waitcnt lgkmcnt(1)
	v_pk_fma_f32 v[34:35], v[12:13], v[28:29], v[34:35] op_sel_hi:[0,1,1]
	v_pk_fma_f32 v[72:73], v[12:13], v[28:29], v[72:73] op_sel:[1,0,0]
	v_pk_fma_f32 v[78:79], v[14:15], v[28:29], v[78:79] op_sel_hi:[0,1,1]
	v_pk_fma_f32 v[80:81], v[12:13], v[30:31], v[80:81] op_sel_hi:[0,1,1]
	v_pk_fma_f32 v[108:109], v[12:13], v[30:31], v[24:25] op_sel:[1,0,0]
	v_pk_fma_f32 v[70:71], v[14:15], v[30:31], v[70:71] op_sel_hi:[0,1,1]
	ds_read_b128 v[8:11], v95 offset:7168
	ds_read_b128 v[12:15], v95 offset:7424
	v_pk_fma_f32 v[30:31], v[84:85], v[30:31], v[26:27] op_sel_hi:[0,1,1]
	ds_read_b128 v[24:27], v96 offset:6400
	v_pk_fma_f32 v[28:29], v[84:85], v[28:29], v[82:83] op_sel_hi:[0,1,1]
	s_waitcnt lgkmcnt(3)
	v_pk_fma_f32 v[34:35], v[4:5], v[20:21], v[34:35] op_sel_hi:[0,1,1]
	v_pk_fma_f32 v[72:73], v[4:5], v[20:21], v[72:73] op_sel:[1,0,0]
	v_pk_fma_f32 v[78:79], v[6:7], v[20:21], v[78:79] op_sel_hi:[0,1,1]
	v_pk_fma_f32 v[80:81], v[4:5], v[22:23], v[80:81] op_sel_hi:[0,1,1]
	v_pk_fma_f32 v[82:83], v[4:5], v[22:23], v[108:109] op_sel:[1,0,0]
	v_pk_fma_f32 v[70:71], v[6:7], v[22:23], v[70:71] op_sel_hi:[0,1,1]
	v_mov_b32_e32 v4, v7
	v_pk_fma_f32 v[28:29], v[4:5], v[20:21], v[28:29] op_sel_hi:[0,1,1]
	v_pk_fma_f32 v[30:31], v[4:5], v[22:23], v[30:31] op_sel_hi:[0,1,1]
	ds_read_b128 v[4:7], v95 offset:7680
	ds_read_b128 v[20:23], v95 offset:7936
	v_mov_b32_e32 v84, v3
	s_waitcnt lgkmcnt(2)
	v_pk_fma_f32 v[34:35], v[0:1], v[24:25], v[34:35] op_sel_hi:[0,1,1]
	v_pk_fma_f32 v[72:73], v[0:1], v[24:25], v[72:73] op_sel:[1,0,0]
	v_pk_fma_f32 v[78:79], v[2:3], v[24:25], v[78:79] op_sel_hi:[0,1,1]
	v_pk_fma_f32 v[80:81], v[0:1], v[26:27], v[80:81] op_sel_hi:[0,1,1]
	v_pk_fma_f32 v[82:83], v[0:1], v[26:27], v[82:83] op_sel:[1,0,0]
	v_pk_fma_f32 v[70:71], v[2:3], v[26:27], v[70:71] op_sel_hi:[0,1,1]
	ds_read_b128 v[0:3], v96 offset:6656
	v_pk_fma_f32 v[28:29], v[84:85], v[24:25], v[28:29] op_sel_hi:[0,1,1]
	v_pk_fma_f32 v[30:31], v[84:85], v[26:27], v[30:31] op_sel_hi:[0,1,1]
	ds_read_b128 v[24:27], v96 offset:6912
	v_mov_b32_e32 v84, v19
	s_waitcnt lgkmcnt(1)
	v_pk_fma_f32 v[28:29], v[84:85], v[0:1], v[28:29] op_sel_hi:[0,1,1]
	v_pk_fma_f32 v[34:35], v[16:17], v[0:1], v[34:35] op_sel_hi:[0,1,1]
	v_pk_fma_f32 v[72:73], v[16:17], v[0:1], v[72:73] op_sel:[1,0,0]
	v_pk_fma_f32 v[0:1], v[18:19], v[0:1], v[78:79] op_sel_hi:[0,1,1]
	v_pk_fma_f32 v[78:79], v[16:17], v[2:3], v[80:81] op_sel_hi:[0,1,1]
	v_pk_fma_f32 v[16:17], v[16:17], v[2:3], v[82:83] op_sel:[1,0,0]
	v_pk_fma_f32 v[70:71], v[18:19], v[2:3], v[70:71] op_sel_hi:[0,1,1]
	v_pk_fma_f32 v[30:31], v[84:85], v[2:3], v[30:31] op_sel_hi:[0,1,1]
	s_waitcnt lgkmcnt(0)
	v_pk_fma_f32 v[108:109], v[76:77], v[24:25], v[0:1] op_sel_hi:[0,1,1]
	ds_read_b128 v[0:3], v96 offset:7168
	v_pk_fma_f32 v[112:113], v[74:75], v[26:27], v[16:17] op_sel:[1,0,0]
	ds_read_b128 v[16:19], v96 offset:7424
	v_mov_b32_e32 v80, v77
	v_addc_co_u32_e32 v33, vcc, 0, v33, vcc
	v_pk_fma_f32 v[28:29], v[80:81], v[24:25], v[28:29] op_sel_hi:[0,1,1]
	v_mov_b32_e32 v82, v11
	v_add_co_u32_e32 v38, vcc, s56, v38
	v_pk_fma_f32 v[34:35], v[74:75], v[24:25], v[34:35] op_sel_hi:[0,1,1]
	v_pk_fma_f32 v[72:73], v[74:75], v[24:25], v[72:73] op_sel:[1,0,0]
	s_waitcnt lgkmcnt(1)
	v_pk_fma_f32 v[24:25], v[82:83], v[0:1], v[28:29] op_sel_hi:[0,1,1]
	v_mov_b32_e32 v28, v15
	v_addc_co_u32_e32 v37, vcc, 0, v37, vcc
	v_pk_fma_f32 v[110:111], v[74:75], v[26:27], v[78:79] op_sel_hi:[0,1,1]
	v_pk_fma_f32 v[114:115], v[76:77], v[26:27], v[70:71] op_sel_hi:[0,1,1]
	;; [unrolled: 1-line block ×3, first 2 shown]
	s_waitcnt lgkmcnt(0)
	v_pk_fma_f32 v[70:71], v[28:29], v[16:17], v[24:25] op_sel_hi:[0,1,1]
	ds_read_b128 v[24:27], v96 offset:7680
	v_add_co_u32_e32 v40, vcc, s56, v40
	v_pk_fma_f32 v[30:31], v[82:83], v[2:3], v[30:31] op_sel_hi:[0,1,1]
	ds_read_b128 v[80:83], v96 offset:7936
	v_addc_co_u32_e32 v39, vcc, 0, v39, vcc
	v_add_co_u32_e32 v42, vcc, s56, v42
	v_pk_fma_f32 v[34:35], v[8:9], v[0:1], v[34:35] op_sel_hi:[0,1,1]
	v_addc_co_u32_e32 v41, vcc, 0, v41, vcc
	v_pk_fma_f32 v[34:35], v[12:13], v[16:17], v[34:35] op_sel_hi:[0,1,1]
	v_add_co_u32_e32 v44, vcc, s56, v44
	s_waitcnt lgkmcnt(1)
	v_pk_fma_f32 v[34:35], v[4:5], v[24:25], v[34:35] op_sel_hi:[0,1,1]
	v_addc_co_u32_e32 v43, vcc, 0, v43, vcc
	s_waitcnt lgkmcnt(0)
	v_pk_fma_f32 v[78:79], v[20:21], v[80:81], v[34:35] op_sel_hi:[0,1,1]
	v_pk_fma_f32 v[34:35], v[8:9], v[0:1], v[72:73] op_sel:[1,0,0]
	v_pk_fma_f32 v[0:1], v[10:11], v[0:1], v[108:109] op_sel_hi:[0,1,1]
	v_add_co_u32_e32 v46, vcc, 0x80, v46
	v_mov_b32_e32 v76, v7
	v_pk_fma_f32 v[34:35], v[12:13], v[16:17], v[34:35] op_sel:[1,0,0]
	v_pk_fma_f32 v[0:1], v[14:15], v[16:17], v[0:1] op_sel_hi:[0,1,1]
	v_addc_co_u32_e32 v45, vcc, 0, v45, vcc
	v_pk_fma_f32 v[28:29], v[28:29], v[18:19], v[30:31] op_sel_hi:[0,1,1]
	v_pk_fma_f32 v[30:31], v[76:77], v[24:25], v[70:71] op_sel_hi:[0,1,1]
	v_pk_fma_f32 v[34:35], v[4:5], v[24:25], v[34:35] op_sel:[1,0,0]
	v_pk_fma_f32 v[0:1], v[6:7], v[24:25], v[0:1] op_sel_hi:[0,1,1]
	v_pk_fma_f32 v[24:25], v[8:9], v[2:3], v[110:111] op_sel_hi:[0,1,1]
	v_pk_fma_f32 v[8:9], v[8:9], v[2:3], v[112:113] op_sel:[1,0,0]
	v_pk_fma_f32 v[2:3], v[10:11], v[2:3], v[114:115] op_sel_hi:[0,1,1]
	v_add_co_u32_e32 v48, vcc, 0x80, v48
	v_pk_fma_f32 v[24:25], v[12:13], v[18:19], v[24:25] op_sel_hi:[0,1,1]
	v_pk_fma_f32 v[8:9], v[12:13], v[18:19], v[8:9] op_sel:[1,0,0]
	v_pk_fma_f32 v[2:3], v[14:15], v[18:19], v[2:3] op_sel_hi:[0,1,1]
	v_addc_co_u32_e32 v47, vcc, 0, v47, vcc
	v_pk_fma_f32 v[72:73], v[22:23], v[80:81], v[0:1] op_sel_hi:[0,1,1]
	v_pk_fma_f32 v[0:1], v[76:77], v[26:27], v[28:29] op_sel_hi:[0,1,1]
	v_mov_b32_e32 v16, v23
	v_pk_fma_f32 v[24:25], v[4:5], v[26:27], v[24:25] op_sel_hi:[0,1,1]
	v_pk_fma_f32 v[4:5], v[4:5], v[26:27], v[8:9] op_sel:[1,0,0]
	v_pk_fma_f32 v[2:3], v[6:7], v[26:27], v[2:3] op_sel_hi:[0,1,1]
	s_add_i32 s51, s51, 1
	v_add_co_u32_e32 v50, vcc, 0x80, v50
	v_pk_fma_f32 v[74:75], v[20:21], v[80:81], v[34:35] op_sel:[1,0,0]
	v_pk_fma_f32 v[30:31], v[16:17], v[80:81], v[30:31] op_sel_hi:[0,1,1]
	v_pk_fma_f32 v[76:77], v[20:21], v[82:83], v[24:25] op_sel_hi:[0,1,1]
	v_pk_fma_f32 v[70:71], v[20:21], v[82:83], v[4:5] op_sel:[1,0,0]
	v_pk_fma_f32 v[34:35], v[22:23], v[82:83], v[2:3] op_sel_hi:[0,1,1]
	v_pk_fma_f32 v[28:29], v[16:17], v[82:83], v[0:1] op_sel_hi:[0,1,1]
	s_cmp_eq_u32 s50, s51
	v_addc_co_u32_e32 v49, vcc, 0, v49, vcc
	s_barrier
	s_cbranch_scc1 .LBB35_204
.LBB35_3:                               ; =>This Inner Loop Header: Depth=1
	s_lshr_b32 s40, s51, 3
	s_mul_hi_u32 s41, s40, 0xd2
	s_mulk_i32 s40, 0xd2
	s_add_u32 s60, s52, s40
	s_addc_u32 s61, s53, s41
	s_bfe_u32 s57, s51, 0x10002
	s_and_b32 s58, s51, 3
	s_lshl_b32 s59, s57, 6
	v_mov_b32_e32 v0, 0
	s_and_saveexec_b64 s[40:41], s[0:1]
	s_cbranch_execz .LBB35_26
; %bb.4:                                ;   in Loop: Header=BB35_3 Depth=1
	v_mov_b32_e32 v1, s61
	v_add_co_u32_e32 v0, vcc, s60, v52
	v_addc_co_u32_e32 v1, vcc, v1, v53, vcc
	global_load_ushort v2, v[0:1], off offset:208
	s_waitcnt vmcnt(0)
	v_lshrrev_b16_e32 v5, 8, v2
	v_perm_b32 v3, v5, v2, s37
	v_lshrrev_b32_e32 v4, 7, v5
	v_bfe_u32 v5, v5, 2, 5
	v_cmp_lt_i32_e32 vcc, 30, v5
	v_lshlrev_b32_e32 v2, 31, v4
	s_and_saveexec_b64 s[42:43], vcc
	s_xor_b64 s[42:43], exec, s[42:43]
; %bb.5:                                ;   in Loop: Header=BB35_3 Depth=1
	v_lshlrev_b32_e32 v2, 31, v4
	v_lshlrev_b32_e32 v3, 13, v3
	v_or3_b32 v2, v3, v2, s54
                                        ; implicit-def: $vgpr3
                                        ; implicit-def: $vgpr5
                                        ; implicit-def: $vgpr4
; %bb.6:                                ;   in Loop: Header=BB35_3 Depth=1
	s_andn2_saveexec_b64 s[42:43], s[42:43]
	s_cbranch_execz .LBB35_14
; %bb.7:                                ;   in Loop: Header=BB35_3 Depth=1
	v_and_b32_e32 v6, 0x3ff, v3
	v_cmp_ne_u32_e32 vcc, 0, v5
	s_and_saveexec_b64 s[46:47], vcc
	s_xor_b64 s[46:47], exec, s[46:47]
; %bb.8:                                ;   in Loop: Header=BB35_3 Depth=1
	v_lshlrev_b32_e32 v2, 31, v4
	v_lshlrev_b32_e32 v3, 23, v5
	;; [unrolled: 1-line block ×3, first 2 shown]
	v_or3_b32 v2, v3, v2, v4
	v_add_u32_e32 v2, 0x38000000, v2
                                        ; implicit-def: $vgpr6
                                        ; implicit-def: $vgpr3
                                        ; implicit-def: $vgpr4
; %bb.9:                                ;   in Loop: Header=BB35_3 Depth=1
	s_andn2_saveexec_b64 s[46:47], s[46:47]
	s_cbranch_execz .LBB35_13
; %bb.10:                               ;   in Loop: Header=BB35_3 Depth=1
	v_cmp_ne_u32_e32 vcc, 0, v6
	s_and_saveexec_b64 s[48:49], vcc
	s_xor_b64 s[48:49], exec, s[48:49]
; %bb.11:                               ;   in Loop: Header=BB35_3 Depth=1
	v_ffbh_u32_e32 v2, v6
	v_xor_b32_e32 v5, 31, v2
	v_sub_u32_e32 v5, 9, v5
	v_lshlrev_b32_e32 v3, v5, v3
	v_lshlrev_b32_e32 v4, 31, v4
	;; [unrolled: 1-line block ×4, first 2 shown]
	v_and_or_b32 v3, v3, s55, v4
	v_sub_u32_e32 v2, v3, v2
	v_add_u32_e32 v2, 0x43000000, v2
; %bb.12:                               ;   in Loop: Header=BB35_3 Depth=1
	s_andn2_saveexec_b64 s[48:49], s[48:49]
	s_or_b64 exec, exec, s[48:49]
.LBB35_13:                              ;   in Loop: Header=BB35_3 Depth=1
	s_or_b64 exec, exec, s[46:47]
.LBB35_14:                              ;   in Loop: Header=BB35_3 Depth=1
	s_or_b64 exec, exec, s[42:43]
	v_add_co_u32_e32 v3, vcc, s59, v0
	v_addc_co_u32_e32 v4, vcc, 0, v1, vcc
	s_lshl_b32 s42, s57, 5
	v_subrev_co_u32_e32 v0, vcc, s42, v3
	v_subbrev_co_u32_e32 v1, vcc, 0, v4, vcc
	v_add_co_u32_e32 v6, vcc, v0, v32
	v_addc_co_u32_e32 v7, vcc, 0, v1, vcc
	global_load_ubyte v5, v[6:7], off offset:128
	s_cmp_lt_i32 s58, 2
	s_cbranch_scc1 .LBB35_17
; %bb.15:                               ;   in Loop: Header=BB35_3 Depth=1
	s_cmp_gt_i32 s58, 2
	s_cbranch_scc0 .LBB35_18
; %bb.16:                               ;   in Loop: Header=BB35_3 Depth=1
	v_add_co_u32_e32 v6, vcc, v3, v32
	v_addc_co_u32_e32 v7, vcc, 0, v4, vcc
	global_load_ubyte v6, v[6:7], off offset:32
	s_waitcnt vmcnt(1)
	v_lshrrev_b32_e32 v7, 2, v5
	s_waitcnt vmcnt(0)
	v_lshrrev_b16_e32 v6, 4, v6
	v_mov_b32_e32 v8, v97
	s_cbranch_execz .LBB35_19
	s_branch .LBB35_20
.LBB35_17:                              ;   in Loop: Header=BB35_3 Depth=1
                                        ; implicit-def: $vgpr8
                                        ; implicit-def: $vgpr6
                                        ; implicit-def: $vgpr7
	s_branch .LBB35_21
.LBB35_18:                              ;   in Loop: Header=BB35_3 Depth=1
                                        ; implicit-def: $vgpr6
                                        ; implicit-def: $vgpr7
	v_mov_b32_e32 v8, v97
.LBB35_19:                              ;   in Loop: Header=BB35_3 Depth=1
	v_add_co_u32_e32 v6, vcc, v3, v32
	v_addc_co_u32_e32 v7, vcc, 0, v4, vcc
	global_load_ubyte v6, v[6:7], off
	v_mov_b32_e32 v8, v98
	s_waitcnt vmcnt(1)
	v_mov_b32_e32 v7, v5
	s_waitcnt vmcnt(0)
	v_lshrrev_b16_e32 v6, 4, v6
.LBB35_20:                              ;   in Loop: Header=BB35_3 Depth=1
	s_cbranch_execnz .LBB35_25
.LBB35_21:                              ;   in Loop: Header=BB35_3 Depth=1
	s_cmp_eq_u32 s58, 1
	s_cbranch_scc1 .LBB35_23
; %bb.22:                               ;   in Loop: Header=BB35_3 Depth=1
	v_add_co_u32_e32 v6, vcc, v3, v32
	v_addc_co_u32_e32 v7, vcc, 0, v4, vcc
	global_load_ubyte v6, v[6:7], off
	s_waitcnt vmcnt(1)
	v_lshlrev_b32_e32 v7, 4, v5
	s_waitcnt vmcnt(0)
	v_and_b32_e32 v6, 15, v6
	v_mov_b32_e32 v8, v87
	s_cbranch_execz .LBB35_24
	s_branch .LBB35_25
.LBB35_23:                              ;   in Loop: Header=BB35_3 Depth=1
                                        ; implicit-def: $vgpr6
                                        ; implicit-def: $vgpr7
	v_mov_b32_e32 v8, v87
.LBB35_24:                              ;   in Loop: Header=BB35_3 Depth=1
	v_add_co_u32_e32 v6, vcc, v3, v32
	v_addc_co_u32_e32 v7, vcc, 0, v4, vcc
	global_load_ubyte v3, v[6:7], off offset:32
	s_waitcnt vmcnt(1)
	v_lshlrev_b32_e32 v7, 2, v5
	v_mov_b32_e32 v8, v99
	s_waitcnt vmcnt(0)
	v_and_b32_e32 v6, 15, v3
.LBB35_25:                              ;   in Loop: Header=BB35_3 Depth=1
	v_mad_i64_i32 v[0:1], s[42:43], s57, v107, v[0:1]
	v_add_co_u32_e32 v0, vcc, v0, v8
	v_addc_co_u32_e32 v1, vcc, 0, v1, vcc
	global_load_sbyte v0, v[0:1], off offset:192
	v_and_b32_e32 v1, 0xff, v6
	v_and_or_b32 v1, v7, 48, v1
	v_subrev_u32_e32 v1, 32, v1
	v_cvt_f32_i32_e32 v1, v1
	s_waitcnt vmcnt(0)
	v_cvt_f32_i32_e32 v0, v0
	v_mul_f32_e32 v0, v2, v0
	v_mul_f32_e32 v0, v0, v1
.LBB35_26:                              ;   in Loop: Header=BB35_3 Depth=1
	s_or_b64 exec, exec, s[40:41]
	ds_write_b32 v100, v0
	v_mov_b32_e32 v0, 0
	s_and_saveexec_b64 s[40:41], s[2:3]
	s_cbranch_execz .LBB35_49
; %bb.27:                               ;   in Loop: Header=BB35_3 Depth=1
	v_mov_b32_e32 v1, s61
	v_add_co_u32_e32 v0, vcc, s60, v54
	v_addc_co_u32_e32 v1, vcc, v1, v55, vcc
	global_load_ushort v2, v[0:1], off offset:208
	s_waitcnt vmcnt(0)
	v_lshrrev_b16_e32 v5, 8, v2
	v_perm_b32 v3, v5, v2, s37
	v_lshrrev_b32_e32 v4, 7, v5
	v_bfe_u32 v5, v5, 2, 5
	v_cmp_lt_i32_e32 vcc, 30, v5
	v_lshlrev_b32_e32 v2, 31, v4
	s_and_saveexec_b64 s[42:43], vcc
	s_xor_b64 s[42:43], exec, s[42:43]
; %bb.28:                               ;   in Loop: Header=BB35_3 Depth=1
	v_lshlrev_b32_e32 v2, 31, v4
	v_lshlrev_b32_e32 v3, 13, v3
	v_or3_b32 v2, v3, v2, s54
                                        ; implicit-def: $vgpr3
                                        ; implicit-def: $vgpr5
                                        ; implicit-def: $vgpr4
; %bb.29:                               ;   in Loop: Header=BB35_3 Depth=1
	s_andn2_saveexec_b64 s[42:43], s[42:43]
	s_cbranch_execz .LBB35_37
; %bb.30:                               ;   in Loop: Header=BB35_3 Depth=1
	v_and_b32_e32 v6, 0x3ff, v3
	v_cmp_ne_u32_e32 vcc, 0, v5
	s_and_saveexec_b64 s[46:47], vcc
	s_xor_b64 s[46:47], exec, s[46:47]
; %bb.31:                               ;   in Loop: Header=BB35_3 Depth=1
	v_lshlrev_b32_e32 v2, 31, v4
	v_lshlrev_b32_e32 v3, 23, v5
	;; [unrolled: 1-line block ×3, first 2 shown]
	v_or3_b32 v2, v3, v2, v4
	v_add_u32_e32 v2, 0x38000000, v2
                                        ; implicit-def: $vgpr6
                                        ; implicit-def: $vgpr3
                                        ; implicit-def: $vgpr4
; %bb.32:                               ;   in Loop: Header=BB35_3 Depth=1
	s_andn2_saveexec_b64 s[46:47], s[46:47]
	s_cbranch_execz .LBB35_36
; %bb.33:                               ;   in Loop: Header=BB35_3 Depth=1
	v_cmp_ne_u32_e32 vcc, 0, v6
	s_and_saveexec_b64 s[48:49], vcc
	s_xor_b64 s[48:49], exec, s[48:49]
; %bb.34:                               ;   in Loop: Header=BB35_3 Depth=1
	v_ffbh_u32_e32 v2, v6
	v_xor_b32_e32 v5, 31, v2
	v_sub_u32_e32 v5, 9, v5
	v_lshlrev_b32_e32 v3, v5, v3
	v_lshlrev_b32_e32 v4, 31, v4
	;; [unrolled: 1-line block ×4, first 2 shown]
	v_and_or_b32 v3, v3, s55, v4
	v_sub_u32_e32 v2, v3, v2
	v_add_u32_e32 v2, 0x43000000, v2
; %bb.35:                               ;   in Loop: Header=BB35_3 Depth=1
	s_andn2_saveexec_b64 s[48:49], s[48:49]
	s_or_b64 exec, exec, s[48:49]
.LBB35_36:                              ;   in Loop: Header=BB35_3 Depth=1
	s_or_b64 exec, exec, s[46:47]
.LBB35_37:                              ;   in Loop: Header=BB35_3 Depth=1
	s_or_b64 exec, exec, s[42:43]
	v_add_co_u32_e32 v3, vcc, s59, v0
	v_addc_co_u32_e32 v4, vcc, 0, v1, vcc
	s_lshl_b32 s42, s57, 5
	v_subrev_co_u32_e32 v0, vcc, s42, v3
	v_subbrev_co_u32_e32 v1, vcc, 0, v4, vcc
	v_add_co_u32_e32 v6, vcc, v0, v32
	v_addc_co_u32_e32 v7, vcc, 0, v1, vcc
	global_load_ubyte v5, v[6:7], off offset:128
	s_cmp_lt_i32 s58, 2
	s_cbranch_scc1 .LBB35_40
; %bb.38:                               ;   in Loop: Header=BB35_3 Depth=1
	s_cmp_gt_i32 s58, 2
	s_cbranch_scc0 .LBB35_41
; %bb.39:                               ;   in Loop: Header=BB35_3 Depth=1
	v_add_co_u32_e32 v6, vcc, v3, v32
	v_addc_co_u32_e32 v7, vcc, 0, v4, vcc
	global_load_ubyte v6, v[6:7], off offset:32
	s_waitcnt vmcnt(1)
	v_lshrrev_b32_e32 v7, 2, v5
	s_waitcnt vmcnt(0)
	v_lshrrev_b16_e32 v6, 4, v6
	v_mov_b32_e32 v8, v97
	s_cbranch_execz .LBB35_42
	s_branch .LBB35_43
.LBB35_40:                              ;   in Loop: Header=BB35_3 Depth=1
                                        ; implicit-def: $vgpr8
                                        ; implicit-def: $vgpr6
                                        ; implicit-def: $vgpr7
	s_branch .LBB35_44
.LBB35_41:                              ;   in Loop: Header=BB35_3 Depth=1
                                        ; implicit-def: $vgpr6
                                        ; implicit-def: $vgpr7
	v_mov_b32_e32 v8, v97
.LBB35_42:                              ;   in Loop: Header=BB35_3 Depth=1
	v_add_co_u32_e32 v6, vcc, v3, v32
	v_addc_co_u32_e32 v7, vcc, 0, v4, vcc
	global_load_ubyte v6, v[6:7], off
	v_mov_b32_e32 v8, v98
	s_waitcnt vmcnt(1)
	v_mov_b32_e32 v7, v5
	s_waitcnt vmcnt(0)
	v_lshrrev_b16_e32 v6, 4, v6
.LBB35_43:                              ;   in Loop: Header=BB35_3 Depth=1
	s_cbranch_execnz .LBB35_48
.LBB35_44:                              ;   in Loop: Header=BB35_3 Depth=1
	s_cmp_lg_u32 s58, 1
	s_cbranch_scc0 .LBB35_46
; %bb.45:                               ;   in Loop: Header=BB35_3 Depth=1
	v_add_co_u32_e32 v6, vcc, v3, v32
	v_addc_co_u32_e32 v7, vcc, 0, v4, vcc
	global_load_ubyte v6, v[6:7], off
	s_waitcnt vmcnt(1)
	v_lshlrev_b32_e32 v7, 4, v5
	s_waitcnt vmcnt(0)
	v_and_b32_e32 v6, 15, v6
	v_mov_b32_e32 v8, v87
	s_cbranch_execz .LBB35_47
	s_branch .LBB35_48
.LBB35_46:                              ;   in Loop: Header=BB35_3 Depth=1
                                        ; implicit-def: $vgpr6
                                        ; implicit-def: $vgpr7
	v_mov_b32_e32 v8, v87
.LBB35_47:                              ;   in Loop: Header=BB35_3 Depth=1
	v_add_co_u32_e32 v6, vcc, v3, v32
	v_addc_co_u32_e32 v7, vcc, 0, v4, vcc
	global_load_ubyte v3, v[6:7], off offset:32
	s_waitcnt vmcnt(1)
	v_lshlrev_b32_e32 v7, 2, v5
	v_mov_b32_e32 v8, v99
	s_waitcnt vmcnt(0)
	v_and_b32_e32 v6, 15, v3
.LBB35_48:                              ;   in Loop: Header=BB35_3 Depth=1
	v_mad_i64_i32 v[0:1], s[42:43], s57, v107, v[0:1]
	v_add_co_u32_e32 v0, vcc, v0, v8
	v_addc_co_u32_e32 v1, vcc, 0, v1, vcc
	global_load_sbyte v0, v[0:1], off offset:192
	v_and_b32_e32 v1, 0xff, v6
	v_and_or_b32 v1, v7, 48, v1
	v_subrev_u32_e32 v1, 32, v1
	v_cvt_f32_i32_e32 v1, v1
	s_waitcnt vmcnt(0)
	v_cvt_f32_i32_e32 v0, v0
	v_mul_f32_e32 v0, v2, v0
	v_mul_f32_e32 v0, v0, v1
.LBB35_49:                              ;   in Loop: Header=BB35_3 Depth=1
	s_or_b64 exec, exec, s[40:41]
	ds_write_b32 v101, v0
	v_mov_b32_e32 v0, 0
	s_and_saveexec_b64 s[40:41], s[4:5]
	s_cbranch_execz .LBB35_72
; %bb.50:                               ;   in Loop: Header=BB35_3 Depth=1
	v_mov_b32_e32 v1, s61
	v_add_co_u32_e32 v0, vcc, s60, v56
	v_addc_co_u32_e32 v1, vcc, v1, v57, vcc
	global_load_ushort v2, v[0:1], off offset:208
	s_waitcnt vmcnt(0)
	v_lshrrev_b16_e32 v5, 8, v2
	v_perm_b32 v3, v5, v2, s37
	v_lshrrev_b32_e32 v4, 7, v5
	v_bfe_u32 v5, v5, 2, 5
	v_cmp_lt_i32_e32 vcc, 30, v5
	v_lshlrev_b32_e32 v2, 31, v4
	s_and_saveexec_b64 s[42:43], vcc
	s_xor_b64 s[42:43], exec, s[42:43]
; %bb.51:                               ;   in Loop: Header=BB35_3 Depth=1
	v_lshlrev_b32_e32 v2, 31, v4
	v_lshlrev_b32_e32 v3, 13, v3
	v_or3_b32 v2, v3, v2, s54
                                        ; implicit-def: $vgpr3
                                        ; implicit-def: $vgpr5
                                        ; implicit-def: $vgpr4
; %bb.52:                               ;   in Loop: Header=BB35_3 Depth=1
	s_andn2_saveexec_b64 s[42:43], s[42:43]
	s_cbranch_execz .LBB35_60
; %bb.53:                               ;   in Loop: Header=BB35_3 Depth=1
	v_and_b32_e32 v6, 0x3ff, v3
	v_cmp_ne_u32_e32 vcc, 0, v5
	s_and_saveexec_b64 s[46:47], vcc
	s_xor_b64 s[46:47], exec, s[46:47]
; %bb.54:                               ;   in Loop: Header=BB35_3 Depth=1
	v_lshlrev_b32_e32 v2, 31, v4
	v_lshlrev_b32_e32 v3, 23, v5
	;; [unrolled: 1-line block ×3, first 2 shown]
	v_or3_b32 v2, v3, v2, v4
	v_add_u32_e32 v2, 0x38000000, v2
                                        ; implicit-def: $vgpr6
                                        ; implicit-def: $vgpr3
                                        ; implicit-def: $vgpr4
; %bb.55:                               ;   in Loop: Header=BB35_3 Depth=1
	s_andn2_saveexec_b64 s[46:47], s[46:47]
	s_cbranch_execz .LBB35_59
; %bb.56:                               ;   in Loop: Header=BB35_3 Depth=1
	v_cmp_ne_u32_e32 vcc, 0, v6
	s_and_saveexec_b64 s[48:49], vcc
	s_xor_b64 s[48:49], exec, s[48:49]
; %bb.57:                               ;   in Loop: Header=BB35_3 Depth=1
	v_ffbh_u32_e32 v2, v6
	v_xor_b32_e32 v5, 31, v2
	v_sub_u32_e32 v5, 9, v5
	v_lshlrev_b32_e32 v3, v5, v3
	v_lshlrev_b32_e32 v4, 31, v4
	v_lshlrev_b32_e32 v3, 14, v3
	v_lshlrev_b32_e32 v2, 23, v2
	v_and_or_b32 v3, v3, s55, v4
	v_sub_u32_e32 v2, v3, v2
	v_add_u32_e32 v2, 0x43000000, v2
; %bb.58:                               ;   in Loop: Header=BB35_3 Depth=1
	s_andn2_saveexec_b64 s[48:49], s[48:49]
	s_or_b64 exec, exec, s[48:49]
.LBB35_59:                              ;   in Loop: Header=BB35_3 Depth=1
	s_or_b64 exec, exec, s[46:47]
.LBB35_60:                              ;   in Loop: Header=BB35_3 Depth=1
	s_or_b64 exec, exec, s[42:43]
	v_add_co_u32_e32 v3, vcc, s59, v0
	v_addc_co_u32_e32 v4, vcc, 0, v1, vcc
	s_lshl_b32 s42, s57, 5
	v_subrev_co_u32_e32 v0, vcc, s42, v3
	v_subbrev_co_u32_e32 v1, vcc, 0, v4, vcc
	v_add_co_u32_e32 v6, vcc, v0, v32
	v_addc_co_u32_e32 v7, vcc, 0, v1, vcc
	global_load_ubyte v5, v[6:7], off offset:128
	s_cmp_lt_i32 s58, 2
	s_cbranch_scc1 .LBB35_63
; %bb.61:                               ;   in Loop: Header=BB35_3 Depth=1
	s_cmp_gt_i32 s58, 2
	s_cbranch_scc0 .LBB35_64
; %bb.62:                               ;   in Loop: Header=BB35_3 Depth=1
	v_add_co_u32_e32 v6, vcc, v3, v32
	v_addc_co_u32_e32 v7, vcc, 0, v4, vcc
	global_load_ubyte v6, v[6:7], off offset:32
	s_waitcnt vmcnt(1)
	v_lshrrev_b32_e32 v7, 2, v5
	s_waitcnt vmcnt(0)
	v_lshrrev_b16_e32 v6, 4, v6
	v_mov_b32_e32 v8, v97
	s_cbranch_execz .LBB35_65
	s_branch .LBB35_66
.LBB35_63:                              ;   in Loop: Header=BB35_3 Depth=1
                                        ; implicit-def: $vgpr8
                                        ; implicit-def: $vgpr6
                                        ; implicit-def: $vgpr7
	s_branch .LBB35_67
.LBB35_64:                              ;   in Loop: Header=BB35_3 Depth=1
                                        ; implicit-def: $vgpr6
                                        ; implicit-def: $vgpr7
	v_mov_b32_e32 v8, v97
.LBB35_65:                              ;   in Loop: Header=BB35_3 Depth=1
	v_add_co_u32_e32 v6, vcc, v3, v32
	v_addc_co_u32_e32 v7, vcc, 0, v4, vcc
	global_load_ubyte v6, v[6:7], off
	v_mov_b32_e32 v8, v98
	s_waitcnt vmcnt(1)
	v_mov_b32_e32 v7, v5
	s_waitcnt vmcnt(0)
	v_lshrrev_b16_e32 v6, 4, v6
.LBB35_66:                              ;   in Loop: Header=BB35_3 Depth=1
	s_cbranch_execnz .LBB35_71
.LBB35_67:                              ;   in Loop: Header=BB35_3 Depth=1
	s_cmp_lg_u32 s58, 1
	s_cbranch_scc0 .LBB35_69
; %bb.68:                               ;   in Loop: Header=BB35_3 Depth=1
	v_add_co_u32_e32 v6, vcc, v3, v32
	v_addc_co_u32_e32 v7, vcc, 0, v4, vcc
	global_load_ubyte v6, v[6:7], off
	s_waitcnt vmcnt(1)
	v_lshlrev_b32_e32 v7, 4, v5
	s_waitcnt vmcnt(0)
	v_and_b32_e32 v6, 15, v6
	v_mov_b32_e32 v8, v87
	s_cbranch_execz .LBB35_70
	s_branch .LBB35_71
.LBB35_69:                              ;   in Loop: Header=BB35_3 Depth=1
                                        ; implicit-def: $vgpr6
                                        ; implicit-def: $vgpr7
	v_mov_b32_e32 v8, v87
.LBB35_70:                              ;   in Loop: Header=BB35_3 Depth=1
	v_add_co_u32_e32 v6, vcc, v3, v32
	v_addc_co_u32_e32 v7, vcc, 0, v4, vcc
	global_load_ubyte v3, v[6:7], off offset:32
	s_waitcnt vmcnt(1)
	v_lshlrev_b32_e32 v7, 2, v5
	v_mov_b32_e32 v8, v99
	s_waitcnt vmcnt(0)
	v_and_b32_e32 v6, 15, v3
.LBB35_71:                              ;   in Loop: Header=BB35_3 Depth=1
	v_mad_i64_i32 v[0:1], s[42:43], s57, v107, v[0:1]
	v_add_co_u32_e32 v0, vcc, v0, v8
	v_addc_co_u32_e32 v1, vcc, 0, v1, vcc
	global_load_sbyte v0, v[0:1], off offset:192
	v_and_b32_e32 v1, 0xff, v6
	v_and_or_b32 v1, v7, 48, v1
	v_subrev_u32_e32 v1, 32, v1
	v_cvt_f32_i32_e32 v1, v1
	s_waitcnt vmcnt(0)
	v_cvt_f32_i32_e32 v0, v0
	v_mul_f32_e32 v0, v2, v0
	v_mul_f32_e32 v0, v0, v1
.LBB35_72:                              ;   in Loop: Header=BB35_3 Depth=1
	s_or_b64 exec, exec, s[40:41]
	ds_write_b32 v102, v0
	v_mov_b32_e32 v0, 0
	s_and_saveexec_b64 s[40:41], s[6:7]
	s_cbranch_execz .LBB35_95
; %bb.73:                               ;   in Loop: Header=BB35_3 Depth=1
	v_mov_b32_e32 v1, s61
	v_add_co_u32_e32 v0, vcc, s60, v58
	v_addc_co_u32_e32 v1, vcc, v1, v59, vcc
	global_load_ushort v2, v[0:1], off offset:208
	s_waitcnt vmcnt(0)
	v_lshrrev_b16_e32 v5, 8, v2
	v_perm_b32 v3, v5, v2, s37
	v_lshrrev_b32_e32 v4, 7, v5
	v_bfe_u32 v5, v5, 2, 5
	v_cmp_lt_i32_e32 vcc, 30, v5
	v_lshlrev_b32_e32 v2, 31, v4
	s_and_saveexec_b64 s[42:43], vcc
	s_xor_b64 s[42:43], exec, s[42:43]
; %bb.74:                               ;   in Loop: Header=BB35_3 Depth=1
	v_lshlrev_b32_e32 v2, 31, v4
	v_lshlrev_b32_e32 v3, 13, v3
	v_or3_b32 v2, v3, v2, s54
                                        ; implicit-def: $vgpr3
                                        ; implicit-def: $vgpr5
                                        ; implicit-def: $vgpr4
; %bb.75:                               ;   in Loop: Header=BB35_3 Depth=1
	s_andn2_saveexec_b64 s[42:43], s[42:43]
	s_cbranch_execz .LBB35_83
; %bb.76:                               ;   in Loop: Header=BB35_3 Depth=1
	v_and_b32_e32 v6, 0x3ff, v3
	v_cmp_ne_u32_e32 vcc, 0, v5
	s_and_saveexec_b64 s[46:47], vcc
	s_xor_b64 s[46:47], exec, s[46:47]
; %bb.77:                               ;   in Loop: Header=BB35_3 Depth=1
	v_lshlrev_b32_e32 v2, 31, v4
	v_lshlrev_b32_e32 v3, 23, v5
	;; [unrolled: 1-line block ×3, first 2 shown]
	v_or3_b32 v2, v3, v2, v4
	v_add_u32_e32 v2, 0x38000000, v2
                                        ; implicit-def: $vgpr6
                                        ; implicit-def: $vgpr3
                                        ; implicit-def: $vgpr4
; %bb.78:                               ;   in Loop: Header=BB35_3 Depth=1
	s_andn2_saveexec_b64 s[46:47], s[46:47]
	s_cbranch_execz .LBB35_82
; %bb.79:                               ;   in Loop: Header=BB35_3 Depth=1
	v_cmp_ne_u32_e32 vcc, 0, v6
	s_and_saveexec_b64 s[48:49], vcc
	s_xor_b64 s[48:49], exec, s[48:49]
; %bb.80:                               ;   in Loop: Header=BB35_3 Depth=1
	v_ffbh_u32_e32 v2, v6
	v_xor_b32_e32 v5, 31, v2
	v_sub_u32_e32 v5, 9, v5
	v_lshlrev_b32_e32 v3, v5, v3
	v_lshlrev_b32_e32 v4, 31, v4
	;; [unrolled: 1-line block ×4, first 2 shown]
	v_and_or_b32 v3, v3, s55, v4
	v_sub_u32_e32 v2, v3, v2
	v_add_u32_e32 v2, 0x43000000, v2
; %bb.81:                               ;   in Loop: Header=BB35_3 Depth=1
	s_andn2_saveexec_b64 s[48:49], s[48:49]
	s_or_b64 exec, exec, s[48:49]
.LBB35_82:                              ;   in Loop: Header=BB35_3 Depth=1
	s_or_b64 exec, exec, s[46:47]
.LBB35_83:                              ;   in Loop: Header=BB35_3 Depth=1
	s_or_b64 exec, exec, s[42:43]
	v_add_co_u32_e32 v3, vcc, s59, v0
	v_addc_co_u32_e32 v4, vcc, 0, v1, vcc
	s_lshl_b32 s42, s57, 5
	v_subrev_co_u32_e32 v0, vcc, s42, v3
	v_subbrev_co_u32_e32 v1, vcc, 0, v4, vcc
	v_add_co_u32_e32 v6, vcc, v0, v32
	v_addc_co_u32_e32 v7, vcc, 0, v1, vcc
	global_load_ubyte v5, v[6:7], off offset:128
	s_cmp_lt_i32 s58, 2
	s_cbranch_scc1 .LBB35_86
; %bb.84:                               ;   in Loop: Header=BB35_3 Depth=1
	s_cmp_gt_i32 s58, 2
	s_cbranch_scc0 .LBB35_87
; %bb.85:                               ;   in Loop: Header=BB35_3 Depth=1
	v_add_co_u32_e32 v6, vcc, v3, v32
	v_addc_co_u32_e32 v7, vcc, 0, v4, vcc
	global_load_ubyte v6, v[6:7], off offset:32
	s_waitcnt vmcnt(1)
	v_lshrrev_b32_e32 v7, 2, v5
	s_waitcnt vmcnt(0)
	v_lshrrev_b16_e32 v6, 4, v6
	v_mov_b32_e32 v8, v97
	s_cbranch_execz .LBB35_88
	s_branch .LBB35_89
.LBB35_86:                              ;   in Loop: Header=BB35_3 Depth=1
                                        ; implicit-def: $vgpr8
                                        ; implicit-def: $vgpr6
                                        ; implicit-def: $vgpr7
	s_branch .LBB35_90
.LBB35_87:                              ;   in Loop: Header=BB35_3 Depth=1
                                        ; implicit-def: $vgpr6
                                        ; implicit-def: $vgpr7
	v_mov_b32_e32 v8, v97
.LBB35_88:                              ;   in Loop: Header=BB35_3 Depth=1
	v_add_co_u32_e32 v6, vcc, v3, v32
	v_addc_co_u32_e32 v7, vcc, 0, v4, vcc
	global_load_ubyte v6, v[6:7], off
	v_mov_b32_e32 v8, v98
	s_waitcnt vmcnt(1)
	v_mov_b32_e32 v7, v5
	s_waitcnt vmcnt(0)
	v_lshrrev_b16_e32 v6, 4, v6
.LBB35_89:                              ;   in Loop: Header=BB35_3 Depth=1
	s_cbranch_execnz .LBB35_94
.LBB35_90:                              ;   in Loop: Header=BB35_3 Depth=1
	s_cmp_lg_u32 s58, 1
	s_cbranch_scc0 .LBB35_92
; %bb.91:                               ;   in Loop: Header=BB35_3 Depth=1
	v_add_co_u32_e32 v6, vcc, v3, v32
	v_addc_co_u32_e32 v7, vcc, 0, v4, vcc
	global_load_ubyte v6, v[6:7], off
	s_waitcnt vmcnt(1)
	v_lshlrev_b32_e32 v7, 4, v5
	s_waitcnt vmcnt(0)
	v_and_b32_e32 v6, 15, v6
	v_mov_b32_e32 v8, v87
	s_cbranch_execz .LBB35_93
	s_branch .LBB35_94
.LBB35_92:                              ;   in Loop: Header=BB35_3 Depth=1
                                        ; implicit-def: $vgpr6
                                        ; implicit-def: $vgpr7
	v_mov_b32_e32 v8, v87
.LBB35_93:                              ;   in Loop: Header=BB35_3 Depth=1
	v_add_co_u32_e32 v6, vcc, v3, v32
	v_addc_co_u32_e32 v7, vcc, 0, v4, vcc
	global_load_ubyte v3, v[6:7], off offset:32
	s_waitcnt vmcnt(1)
	v_lshlrev_b32_e32 v7, 2, v5
	v_mov_b32_e32 v8, v99
	s_waitcnt vmcnt(0)
	v_and_b32_e32 v6, 15, v3
.LBB35_94:                              ;   in Loop: Header=BB35_3 Depth=1
	v_mad_i64_i32 v[0:1], s[42:43], s57, v107, v[0:1]
	v_add_co_u32_e32 v0, vcc, v0, v8
	v_addc_co_u32_e32 v1, vcc, 0, v1, vcc
	global_load_sbyte v0, v[0:1], off offset:192
	v_and_b32_e32 v1, 0xff, v6
	v_and_or_b32 v1, v7, 48, v1
	v_subrev_u32_e32 v1, 32, v1
	v_cvt_f32_i32_e32 v1, v1
	s_waitcnt vmcnt(0)
	v_cvt_f32_i32_e32 v0, v0
	v_mul_f32_e32 v0, v2, v0
	v_mul_f32_e32 v0, v0, v1
.LBB35_95:                              ;   in Loop: Header=BB35_3 Depth=1
	s_or_b64 exec, exec, s[40:41]
	ds_write_b32 v103, v0
	v_mov_b32_e32 v0, 0
	s_and_saveexec_b64 s[40:41], s[8:9]
	s_cbranch_execz .LBB35_118
; %bb.96:                               ;   in Loop: Header=BB35_3 Depth=1
	v_mov_b32_e32 v1, s61
	v_add_co_u32_e32 v0, vcc, s60, v60
	v_addc_co_u32_e32 v1, vcc, v1, v61, vcc
	global_load_ushort v2, v[0:1], off offset:208
	s_waitcnt vmcnt(0)
	v_lshrrev_b16_e32 v5, 8, v2
	v_perm_b32 v3, v5, v2, s37
	v_lshrrev_b32_e32 v4, 7, v5
	v_bfe_u32 v5, v5, 2, 5
	v_cmp_lt_i32_e32 vcc, 30, v5
	v_lshlrev_b32_e32 v2, 31, v4
	s_and_saveexec_b64 s[42:43], vcc
	s_xor_b64 s[42:43], exec, s[42:43]
; %bb.97:                               ;   in Loop: Header=BB35_3 Depth=1
	v_lshlrev_b32_e32 v2, 31, v4
	v_lshlrev_b32_e32 v3, 13, v3
	v_or3_b32 v2, v3, v2, s54
                                        ; implicit-def: $vgpr3
                                        ; implicit-def: $vgpr5
                                        ; implicit-def: $vgpr4
; %bb.98:                               ;   in Loop: Header=BB35_3 Depth=1
	s_andn2_saveexec_b64 s[42:43], s[42:43]
	s_cbranch_execz .LBB35_106
; %bb.99:                               ;   in Loop: Header=BB35_3 Depth=1
	v_and_b32_e32 v6, 0x3ff, v3
	v_cmp_ne_u32_e32 vcc, 0, v5
	s_and_saveexec_b64 s[46:47], vcc
	s_xor_b64 s[46:47], exec, s[46:47]
; %bb.100:                              ;   in Loop: Header=BB35_3 Depth=1
	v_lshlrev_b32_e32 v2, 31, v4
	v_lshlrev_b32_e32 v3, 23, v5
	;; [unrolled: 1-line block ×3, first 2 shown]
	v_or3_b32 v2, v3, v2, v4
	v_add_u32_e32 v2, 0x38000000, v2
                                        ; implicit-def: $vgpr6
                                        ; implicit-def: $vgpr3
                                        ; implicit-def: $vgpr4
; %bb.101:                              ;   in Loop: Header=BB35_3 Depth=1
	s_andn2_saveexec_b64 s[46:47], s[46:47]
	s_cbranch_execz .LBB35_105
; %bb.102:                              ;   in Loop: Header=BB35_3 Depth=1
	v_cmp_ne_u32_e32 vcc, 0, v6
	s_and_saveexec_b64 s[48:49], vcc
	s_xor_b64 s[48:49], exec, s[48:49]
; %bb.103:                              ;   in Loop: Header=BB35_3 Depth=1
	v_ffbh_u32_e32 v2, v6
	v_xor_b32_e32 v5, 31, v2
	v_sub_u32_e32 v5, 9, v5
	v_lshlrev_b32_e32 v3, v5, v3
	v_lshlrev_b32_e32 v4, 31, v4
	v_lshlrev_b32_e32 v3, 14, v3
	v_lshlrev_b32_e32 v2, 23, v2
	v_and_or_b32 v3, v3, s55, v4
	v_sub_u32_e32 v2, v3, v2
	v_add_u32_e32 v2, 0x43000000, v2
; %bb.104:                              ;   in Loop: Header=BB35_3 Depth=1
	s_andn2_saveexec_b64 s[48:49], s[48:49]
	s_or_b64 exec, exec, s[48:49]
.LBB35_105:                             ;   in Loop: Header=BB35_3 Depth=1
	s_or_b64 exec, exec, s[46:47]
.LBB35_106:                             ;   in Loop: Header=BB35_3 Depth=1
	s_or_b64 exec, exec, s[42:43]
	v_add_co_u32_e32 v3, vcc, s59, v0
	v_addc_co_u32_e32 v4, vcc, 0, v1, vcc
	s_lshl_b32 s42, s57, 5
	v_subrev_co_u32_e32 v0, vcc, s42, v3
	v_subbrev_co_u32_e32 v1, vcc, 0, v4, vcc
	v_add_co_u32_e32 v6, vcc, v0, v32
	v_addc_co_u32_e32 v7, vcc, 0, v1, vcc
	global_load_ubyte v5, v[6:7], off offset:128
	s_cmp_lt_i32 s58, 2
	s_cbranch_scc1 .LBB35_109
; %bb.107:                              ;   in Loop: Header=BB35_3 Depth=1
	s_cmp_gt_i32 s58, 2
	s_cbranch_scc0 .LBB35_110
; %bb.108:                              ;   in Loop: Header=BB35_3 Depth=1
	v_add_co_u32_e32 v6, vcc, v3, v32
	v_addc_co_u32_e32 v7, vcc, 0, v4, vcc
	global_load_ubyte v6, v[6:7], off offset:32
	s_waitcnt vmcnt(1)
	v_lshrrev_b32_e32 v7, 2, v5
	s_waitcnt vmcnt(0)
	v_lshrrev_b16_e32 v6, 4, v6
	v_mov_b32_e32 v8, v97
	s_cbranch_execz .LBB35_111
	s_branch .LBB35_112
.LBB35_109:                             ;   in Loop: Header=BB35_3 Depth=1
                                        ; implicit-def: $vgpr8
                                        ; implicit-def: $vgpr6
                                        ; implicit-def: $vgpr7
	s_branch .LBB35_113
.LBB35_110:                             ;   in Loop: Header=BB35_3 Depth=1
                                        ; implicit-def: $vgpr6
                                        ; implicit-def: $vgpr7
	v_mov_b32_e32 v8, v97
.LBB35_111:                             ;   in Loop: Header=BB35_3 Depth=1
	v_add_co_u32_e32 v6, vcc, v3, v32
	v_addc_co_u32_e32 v7, vcc, 0, v4, vcc
	global_load_ubyte v6, v[6:7], off
	v_mov_b32_e32 v8, v98
	s_waitcnt vmcnt(1)
	v_mov_b32_e32 v7, v5
	s_waitcnt vmcnt(0)
	v_lshrrev_b16_e32 v6, 4, v6
.LBB35_112:                             ;   in Loop: Header=BB35_3 Depth=1
	s_cbranch_execnz .LBB35_117
.LBB35_113:                             ;   in Loop: Header=BB35_3 Depth=1
	s_cmp_lg_u32 s58, 1
	s_cbranch_scc0 .LBB35_115
; %bb.114:                              ;   in Loop: Header=BB35_3 Depth=1
	v_add_co_u32_e32 v6, vcc, v3, v32
	v_addc_co_u32_e32 v7, vcc, 0, v4, vcc
	global_load_ubyte v6, v[6:7], off
	s_waitcnt vmcnt(1)
	v_lshlrev_b32_e32 v7, 4, v5
	s_waitcnt vmcnt(0)
	v_and_b32_e32 v6, 15, v6
	v_mov_b32_e32 v8, v87
	s_cbranch_execz .LBB35_116
	s_branch .LBB35_117
.LBB35_115:                             ;   in Loop: Header=BB35_3 Depth=1
                                        ; implicit-def: $vgpr6
                                        ; implicit-def: $vgpr7
	v_mov_b32_e32 v8, v87
.LBB35_116:                             ;   in Loop: Header=BB35_3 Depth=1
	v_add_co_u32_e32 v6, vcc, v3, v32
	v_addc_co_u32_e32 v7, vcc, 0, v4, vcc
	global_load_ubyte v3, v[6:7], off offset:32
	s_waitcnt vmcnt(1)
	v_lshlrev_b32_e32 v7, 2, v5
	v_mov_b32_e32 v8, v99
	s_waitcnt vmcnt(0)
	v_and_b32_e32 v6, 15, v3
.LBB35_117:                             ;   in Loop: Header=BB35_3 Depth=1
	v_mad_i64_i32 v[0:1], s[42:43], s57, v107, v[0:1]
	v_add_co_u32_e32 v0, vcc, v0, v8
	v_addc_co_u32_e32 v1, vcc, 0, v1, vcc
	global_load_sbyte v0, v[0:1], off offset:192
	v_and_b32_e32 v1, 0xff, v6
	v_and_or_b32 v1, v7, 48, v1
	v_subrev_u32_e32 v1, 32, v1
	v_cvt_f32_i32_e32 v1, v1
	s_waitcnt vmcnt(0)
	v_cvt_f32_i32_e32 v0, v0
	v_mul_f32_e32 v0, v2, v0
	v_mul_f32_e32 v0, v0, v1
.LBB35_118:                             ;   in Loop: Header=BB35_3 Depth=1
	s_or_b64 exec, exec, s[40:41]
	ds_write_b32 v100, v0 offset:128
	v_mov_b32_e32 v0, 0
	s_and_saveexec_b64 s[40:41], s[10:11]
	s_cbranch_execz .LBB35_141
; %bb.119:                              ;   in Loop: Header=BB35_3 Depth=1
	v_mov_b32_e32 v1, s61
	v_add_co_u32_e32 v0, vcc, s60, v62
	v_addc_co_u32_e32 v1, vcc, v1, v63, vcc
	global_load_ushort v2, v[0:1], off offset:208
	s_waitcnt vmcnt(0)
	v_lshrrev_b16_e32 v5, 8, v2
	v_perm_b32 v3, v5, v2, s37
	v_lshrrev_b32_e32 v4, 7, v5
	v_bfe_u32 v5, v5, 2, 5
	v_cmp_lt_i32_e32 vcc, 30, v5
	v_lshlrev_b32_e32 v2, 31, v4
	s_and_saveexec_b64 s[42:43], vcc
	s_xor_b64 s[42:43], exec, s[42:43]
; %bb.120:                              ;   in Loop: Header=BB35_3 Depth=1
	v_lshlrev_b32_e32 v2, 31, v4
	v_lshlrev_b32_e32 v3, 13, v3
	v_or3_b32 v2, v3, v2, s54
                                        ; implicit-def: $vgpr3
                                        ; implicit-def: $vgpr5
                                        ; implicit-def: $vgpr4
; %bb.121:                              ;   in Loop: Header=BB35_3 Depth=1
	s_andn2_saveexec_b64 s[42:43], s[42:43]
	s_cbranch_execz .LBB35_129
; %bb.122:                              ;   in Loop: Header=BB35_3 Depth=1
	v_and_b32_e32 v6, 0x3ff, v3
	v_cmp_ne_u32_e32 vcc, 0, v5
	s_and_saveexec_b64 s[46:47], vcc
	s_xor_b64 s[46:47], exec, s[46:47]
; %bb.123:                              ;   in Loop: Header=BB35_3 Depth=1
	v_lshlrev_b32_e32 v2, 31, v4
	v_lshlrev_b32_e32 v3, 23, v5
	;; [unrolled: 1-line block ×3, first 2 shown]
	v_or3_b32 v2, v3, v2, v4
	v_add_u32_e32 v2, 0x38000000, v2
                                        ; implicit-def: $vgpr6
                                        ; implicit-def: $vgpr3
                                        ; implicit-def: $vgpr4
; %bb.124:                              ;   in Loop: Header=BB35_3 Depth=1
	s_andn2_saveexec_b64 s[46:47], s[46:47]
	s_cbranch_execz .LBB35_128
; %bb.125:                              ;   in Loop: Header=BB35_3 Depth=1
	v_cmp_ne_u32_e32 vcc, 0, v6
	s_and_saveexec_b64 s[48:49], vcc
	s_xor_b64 s[48:49], exec, s[48:49]
; %bb.126:                              ;   in Loop: Header=BB35_3 Depth=1
	v_ffbh_u32_e32 v2, v6
	v_xor_b32_e32 v5, 31, v2
	v_sub_u32_e32 v5, 9, v5
	v_lshlrev_b32_e32 v3, v5, v3
	v_lshlrev_b32_e32 v4, 31, v4
	v_lshlrev_b32_e32 v3, 14, v3
	v_lshlrev_b32_e32 v2, 23, v2
	v_and_or_b32 v3, v3, s55, v4
	v_sub_u32_e32 v2, v3, v2
	v_add_u32_e32 v2, 0x43000000, v2
; %bb.127:                              ;   in Loop: Header=BB35_3 Depth=1
	s_andn2_saveexec_b64 s[48:49], s[48:49]
	s_or_b64 exec, exec, s[48:49]
.LBB35_128:                             ;   in Loop: Header=BB35_3 Depth=1
	s_or_b64 exec, exec, s[46:47]
.LBB35_129:                             ;   in Loop: Header=BB35_3 Depth=1
	s_or_b64 exec, exec, s[42:43]
	v_add_co_u32_e32 v3, vcc, s59, v0
	v_addc_co_u32_e32 v4, vcc, 0, v1, vcc
	s_lshl_b32 s42, s57, 5
	v_subrev_co_u32_e32 v0, vcc, s42, v3
	v_subbrev_co_u32_e32 v1, vcc, 0, v4, vcc
	v_add_co_u32_e32 v6, vcc, v0, v32
	v_addc_co_u32_e32 v7, vcc, 0, v1, vcc
	global_load_ubyte v5, v[6:7], off offset:128
	s_cmp_lt_i32 s58, 2
	s_cbranch_scc1 .LBB35_132
; %bb.130:                              ;   in Loop: Header=BB35_3 Depth=1
	s_cmp_gt_i32 s58, 2
	s_cbranch_scc0 .LBB35_133
; %bb.131:                              ;   in Loop: Header=BB35_3 Depth=1
	v_add_co_u32_e32 v6, vcc, v3, v32
	v_addc_co_u32_e32 v7, vcc, 0, v4, vcc
	global_load_ubyte v6, v[6:7], off offset:32
	s_waitcnt vmcnt(1)
	v_lshrrev_b32_e32 v7, 2, v5
	s_waitcnt vmcnt(0)
	v_lshrrev_b16_e32 v6, 4, v6
	v_mov_b32_e32 v8, v97
	s_cbranch_execz .LBB35_134
	s_branch .LBB35_135
.LBB35_132:                             ;   in Loop: Header=BB35_3 Depth=1
                                        ; implicit-def: $vgpr8
                                        ; implicit-def: $vgpr6
                                        ; implicit-def: $vgpr7
	s_branch .LBB35_136
.LBB35_133:                             ;   in Loop: Header=BB35_3 Depth=1
                                        ; implicit-def: $vgpr6
                                        ; implicit-def: $vgpr7
	v_mov_b32_e32 v8, v97
.LBB35_134:                             ;   in Loop: Header=BB35_3 Depth=1
	v_add_co_u32_e32 v6, vcc, v3, v32
	v_addc_co_u32_e32 v7, vcc, 0, v4, vcc
	global_load_ubyte v6, v[6:7], off
	v_mov_b32_e32 v8, v98
	s_waitcnt vmcnt(1)
	v_mov_b32_e32 v7, v5
	s_waitcnt vmcnt(0)
	v_lshrrev_b16_e32 v6, 4, v6
.LBB35_135:                             ;   in Loop: Header=BB35_3 Depth=1
	s_cbranch_execnz .LBB35_140
.LBB35_136:                             ;   in Loop: Header=BB35_3 Depth=1
	s_cmp_lg_u32 s58, 1
	s_cbranch_scc0 .LBB35_138
; %bb.137:                              ;   in Loop: Header=BB35_3 Depth=1
	v_add_co_u32_e32 v6, vcc, v3, v32
	v_addc_co_u32_e32 v7, vcc, 0, v4, vcc
	global_load_ubyte v6, v[6:7], off
	s_waitcnt vmcnt(1)
	v_lshlrev_b32_e32 v7, 4, v5
	s_waitcnt vmcnt(0)
	v_and_b32_e32 v6, 15, v6
	v_mov_b32_e32 v8, v87
	s_cbranch_execz .LBB35_139
	s_branch .LBB35_140
.LBB35_138:                             ;   in Loop: Header=BB35_3 Depth=1
                                        ; implicit-def: $vgpr6
                                        ; implicit-def: $vgpr7
	v_mov_b32_e32 v8, v87
.LBB35_139:                             ;   in Loop: Header=BB35_3 Depth=1
	v_add_co_u32_e32 v6, vcc, v3, v32
	v_addc_co_u32_e32 v7, vcc, 0, v4, vcc
	global_load_ubyte v3, v[6:7], off offset:32
	s_waitcnt vmcnt(1)
	v_lshlrev_b32_e32 v7, 2, v5
	v_mov_b32_e32 v8, v99
	s_waitcnt vmcnt(0)
	v_and_b32_e32 v6, 15, v3
.LBB35_140:                             ;   in Loop: Header=BB35_3 Depth=1
	v_mad_i64_i32 v[0:1], s[42:43], s57, v107, v[0:1]
	v_add_co_u32_e32 v0, vcc, v0, v8
	v_addc_co_u32_e32 v1, vcc, 0, v1, vcc
	global_load_sbyte v0, v[0:1], off offset:192
	v_and_b32_e32 v1, 0xff, v6
	v_and_or_b32 v1, v7, 48, v1
	v_subrev_u32_e32 v1, 32, v1
	v_cvt_f32_i32_e32 v1, v1
	s_waitcnt vmcnt(0)
	v_cvt_f32_i32_e32 v0, v0
	v_mul_f32_e32 v0, v2, v0
	v_mul_f32_e32 v0, v0, v1
.LBB35_141:                             ;   in Loop: Header=BB35_3 Depth=1
	s_or_b64 exec, exec, s[40:41]
	ds_write_b32 v104, v0
	v_mov_b32_e32 v0, 0
	s_and_saveexec_b64 s[40:41], s[12:13]
	s_cbranch_execz .LBB35_164
; %bb.142:                              ;   in Loop: Header=BB35_3 Depth=1
	v_mov_b32_e32 v1, s61
	v_add_co_u32_e32 v0, vcc, s60, v64
	v_addc_co_u32_e32 v1, vcc, v1, v65, vcc
	global_load_ushort v2, v[0:1], off offset:208
	s_waitcnt vmcnt(0)
	v_lshrrev_b16_e32 v5, 8, v2
	v_perm_b32 v3, v5, v2, s37
	v_lshrrev_b32_e32 v4, 7, v5
	v_bfe_u32 v5, v5, 2, 5
	v_cmp_lt_i32_e32 vcc, 30, v5
	v_lshlrev_b32_e32 v2, 31, v4
	s_and_saveexec_b64 s[42:43], vcc
	s_xor_b64 s[42:43], exec, s[42:43]
; %bb.143:                              ;   in Loop: Header=BB35_3 Depth=1
	v_lshlrev_b32_e32 v2, 31, v4
	v_lshlrev_b32_e32 v3, 13, v3
	v_or3_b32 v2, v3, v2, s54
                                        ; implicit-def: $vgpr3
                                        ; implicit-def: $vgpr5
                                        ; implicit-def: $vgpr4
; %bb.144:                              ;   in Loop: Header=BB35_3 Depth=1
	s_andn2_saveexec_b64 s[42:43], s[42:43]
	s_cbranch_execz .LBB35_152
; %bb.145:                              ;   in Loop: Header=BB35_3 Depth=1
	v_and_b32_e32 v6, 0x3ff, v3
	v_cmp_ne_u32_e32 vcc, 0, v5
	s_and_saveexec_b64 s[46:47], vcc
	s_xor_b64 s[46:47], exec, s[46:47]
; %bb.146:                              ;   in Loop: Header=BB35_3 Depth=1
	v_lshlrev_b32_e32 v2, 31, v4
	v_lshlrev_b32_e32 v3, 23, v5
	;; [unrolled: 1-line block ×3, first 2 shown]
	v_or3_b32 v2, v3, v2, v4
	v_add_u32_e32 v2, 0x38000000, v2
                                        ; implicit-def: $vgpr6
                                        ; implicit-def: $vgpr3
                                        ; implicit-def: $vgpr4
; %bb.147:                              ;   in Loop: Header=BB35_3 Depth=1
	s_andn2_saveexec_b64 s[46:47], s[46:47]
	s_cbranch_execz .LBB35_151
; %bb.148:                              ;   in Loop: Header=BB35_3 Depth=1
	v_cmp_ne_u32_e32 vcc, 0, v6
	s_and_saveexec_b64 s[48:49], vcc
	s_xor_b64 s[48:49], exec, s[48:49]
; %bb.149:                              ;   in Loop: Header=BB35_3 Depth=1
	v_ffbh_u32_e32 v2, v6
	v_xor_b32_e32 v5, 31, v2
	v_sub_u32_e32 v5, 9, v5
	v_lshlrev_b32_e32 v3, v5, v3
	v_lshlrev_b32_e32 v4, 31, v4
	;; [unrolled: 1-line block ×4, first 2 shown]
	v_and_or_b32 v3, v3, s55, v4
	v_sub_u32_e32 v2, v3, v2
	v_add_u32_e32 v2, 0x43000000, v2
; %bb.150:                              ;   in Loop: Header=BB35_3 Depth=1
	s_andn2_saveexec_b64 s[48:49], s[48:49]
	s_or_b64 exec, exec, s[48:49]
.LBB35_151:                             ;   in Loop: Header=BB35_3 Depth=1
	s_or_b64 exec, exec, s[46:47]
.LBB35_152:                             ;   in Loop: Header=BB35_3 Depth=1
	s_or_b64 exec, exec, s[42:43]
	v_add_co_u32_e32 v3, vcc, s59, v0
	v_addc_co_u32_e32 v4, vcc, 0, v1, vcc
	s_lshl_b32 s42, s57, 5
	v_subrev_co_u32_e32 v0, vcc, s42, v3
	v_subbrev_co_u32_e32 v1, vcc, 0, v4, vcc
	v_add_co_u32_e32 v6, vcc, v0, v32
	v_addc_co_u32_e32 v7, vcc, 0, v1, vcc
	global_load_ubyte v5, v[6:7], off offset:128
	s_cmp_lt_i32 s58, 2
	s_cbranch_scc1 .LBB35_155
; %bb.153:                              ;   in Loop: Header=BB35_3 Depth=1
	s_cmp_gt_i32 s58, 2
	s_cbranch_scc0 .LBB35_156
; %bb.154:                              ;   in Loop: Header=BB35_3 Depth=1
	v_add_co_u32_e32 v6, vcc, v3, v32
	v_addc_co_u32_e32 v7, vcc, 0, v4, vcc
	global_load_ubyte v6, v[6:7], off offset:32
	s_waitcnt vmcnt(1)
	v_lshrrev_b32_e32 v7, 2, v5
	s_waitcnt vmcnt(0)
	v_lshrrev_b16_e32 v6, 4, v6
	v_mov_b32_e32 v8, v97
	s_cbranch_execz .LBB35_157
	s_branch .LBB35_158
.LBB35_155:                             ;   in Loop: Header=BB35_3 Depth=1
                                        ; implicit-def: $vgpr8
                                        ; implicit-def: $vgpr6
                                        ; implicit-def: $vgpr7
	s_branch .LBB35_159
.LBB35_156:                             ;   in Loop: Header=BB35_3 Depth=1
                                        ; implicit-def: $vgpr6
                                        ; implicit-def: $vgpr7
	v_mov_b32_e32 v8, v97
.LBB35_157:                             ;   in Loop: Header=BB35_3 Depth=1
	v_add_co_u32_e32 v6, vcc, v3, v32
	v_addc_co_u32_e32 v7, vcc, 0, v4, vcc
	global_load_ubyte v6, v[6:7], off
	v_mov_b32_e32 v8, v98
	s_waitcnt vmcnt(1)
	v_mov_b32_e32 v7, v5
	s_waitcnt vmcnt(0)
	v_lshrrev_b16_e32 v6, 4, v6
.LBB35_158:                             ;   in Loop: Header=BB35_3 Depth=1
	s_cbranch_execnz .LBB35_163
.LBB35_159:                             ;   in Loop: Header=BB35_3 Depth=1
	s_cmp_lg_u32 s58, 1
	s_cbranch_scc0 .LBB35_161
; %bb.160:                              ;   in Loop: Header=BB35_3 Depth=1
	v_add_co_u32_e32 v6, vcc, v3, v32
	v_addc_co_u32_e32 v7, vcc, 0, v4, vcc
	global_load_ubyte v6, v[6:7], off
	s_waitcnt vmcnt(1)
	v_lshlrev_b32_e32 v7, 4, v5
	s_waitcnt vmcnt(0)
	v_and_b32_e32 v6, 15, v6
	v_mov_b32_e32 v8, v87
	s_cbranch_execz .LBB35_162
	s_branch .LBB35_163
.LBB35_161:                             ;   in Loop: Header=BB35_3 Depth=1
                                        ; implicit-def: $vgpr6
                                        ; implicit-def: $vgpr7
	v_mov_b32_e32 v8, v87
.LBB35_162:                             ;   in Loop: Header=BB35_3 Depth=1
	v_add_co_u32_e32 v6, vcc, v3, v32
	v_addc_co_u32_e32 v7, vcc, 0, v4, vcc
	global_load_ubyte v3, v[6:7], off offset:32
	s_waitcnt vmcnt(1)
	v_lshlrev_b32_e32 v7, 2, v5
	v_mov_b32_e32 v8, v99
	s_waitcnt vmcnt(0)
	v_and_b32_e32 v6, 15, v3
.LBB35_163:                             ;   in Loop: Header=BB35_3 Depth=1
	v_mad_i64_i32 v[0:1], s[42:43], s57, v107, v[0:1]
	v_add_co_u32_e32 v0, vcc, v0, v8
	v_addc_co_u32_e32 v1, vcc, 0, v1, vcc
	global_load_sbyte v0, v[0:1], off offset:192
	v_and_b32_e32 v1, 0xff, v6
	v_and_or_b32 v1, v7, 48, v1
	v_subrev_u32_e32 v1, 32, v1
	v_cvt_f32_i32_e32 v1, v1
	s_waitcnt vmcnt(0)
	v_cvt_f32_i32_e32 v0, v0
	v_mul_f32_e32 v0, v2, v0
	v_mul_f32_e32 v0, v0, v1
.LBB35_164:                             ;   in Loop: Header=BB35_3 Depth=1
	s_or_b64 exec, exec, s[40:41]
	ds_write_b32 v105, v0
	v_mov_b32_e32 v0, 0
	s_and_saveexec_b64 s[40:41], s[14:15]
	s_cbranch_execz .LBB35_187
; %bb.165:                              ;   in Loop: Header=BB35_3 Depth=1
	v_mov_b32_e32 v1, s61
	v_add_co_u32_e32 v0, vcc, s60, v66
	v_addc_co_u32_e32 v1, vcc, v1, v67, vcc
	global_load_ushort v2, v[0:1], off offset:208
	s_waitcnt vmcnt(0)
	v_lshrrev_b16_e32 v5, 8, v2
	v_perm_b32 v3, v5, v2, s37
	v_lshrrev_b32_e32 v4, 7, v5
	v_bfe_u32 v5, v5, 2, 5
	v_cmp_lt_i32_e32 vcc, 30, v5
	v_lshlrev_b32_e32 v2, 31, v4
	s_and_saveexec_b64 s[42:43], vcc
	s_xor_b64 s[42:43], exec, s[42:43]
; %bb.166:                              ;   in Loop: Header=BB35_3 Depth=1
	v_lshlrev_b32_e32 v2, 31, v4
	v_lshlrev_b32_e32 v3, 13, v3
	v_or3_b32 v2, v3, v2, s54
                                        ; implicit-def: $vgpr3
                                        ; implicit-def: $vgpr5
                                        ; implicit-def: $vgpr4
; %bb.167:                              ;   in Loop: Header=BB35_3 Depth=1
	s_andn2_saveexec_b64 s[42:43], s[42:43]
	s_cbranch_execz .LBB35_175
; %bb.168:                              ;   in Loop: Header=BB35_3 Depth=1
	v_and_b32_e32 v6, 0x3ff, v3
	v_cmp_ne_u32_e32 vcc, 0, v5
	s_and_saveexec_b64 s[46:47], vcc
	s_xor_b64 s[46:47], exec, s[46:47]
; %bb.169:                              ;   in Loop: Header=BB35_3 Depth=1
	v_lshlrev_b32_e32 v2, 31, v4
	v_lshlrev_b32_e32 v3, 23, v5
	;; [unrolled: 1-line block ×3, first 2 shown]
	v_or3_b32 v2, v3, v2, v4
	v_add_u32_e32 v2, 0x38000000, v2
                                        ; implicit-def: $vgpr6
                                        ; implicit-def: $vgpr3
                                        ; implicit-def: $vgpr4
; %bb.170:                              ;   in Loop: Header=BB35_3 Depth=1
	s_andn2_saveexec_b64 s[46:47], s[46:47]
	s_cbranch_execz .LBB35_174
; %bb.171:                              ;   in Loop: Header=BB35_3 Depth=1
	v_cmp_ne_u32_e32 vcc, 0, v6
	s_and_saveexec_b64 s[48:49], vcc
	s_xor_b64 s[48:49], exec, s[48:49]
; %bb.172:                              ;   in Loop: Header=BB35_3 Depth=1
	v_ffbh_u32_e32 v2, v6
	v_xor_b32_e32 v5, 31, v2
	v_sub_u32_e32 v5, 9, v5
	v_lshlrev_b32_e32 v3, v5, v3
	v_lshlrev_b32_e32 v4, 31, v4
	;; [unrolled: 1-line block ×4, first 2 shown]
	v_and_or_b32 v3, v3, s55, v4
	v_sub_u32_e32 v2, v3, v2
	v_add_u32_e32 v2, 0x43000000, v2
; %bb.173:                              ;   in Loop: Header=BB35_3 Depth=1
	s_andn2_saveexec_b64 s[48:49], s[48:49]
	s_or_b64 exec, exec, s[48:49]
.LBB35_174:                             ;   in Loop: Header=BB35_3 Depth=1
	s_or_b64 exec, exec, s[46:47]
.LBB35_175:                             ;   in Loop: Header=BB35_3 Depth=1
	s_or_b64 exec, exec, s[42:43]
	v_add_co_u32_e32 v3, vcc, s59, v0
	v_addc_co_u32_e32 v4, vcc, 0, v1, vcc
	s_lshl_b32 s42, s57, 5
	v_subrev_co_u32_e32 v0, vcc, s42, v3
	v_subbrev_co_u32_e32 v1, vcc, 0, v4, vcc
	v_add_co_u32_e32 v6, vcc, v0, v32
	v_addc_co_u32_e32 v7, vcc, 0, v1, vcc
	global_load_ubyte v5, v[6:7], off offset:128
	s_cmp_lt_i32 s58, 2
	s_cbranch_scc1 .LBB35_178
; %bb.176:                              ;   in Loop: Header=BB35_3 Depth=1
	s_cmp_gt_i32 s58, 2
	s_cbranch_scc0 .LBB35_179
; %bb.177:                              ;   in Loop: Header=BB35_3 Depth=1
	v_add_co_u32_e32 v6, vcc, v3, v32
	v_addc_co_u32_e32 v7, vcc, 0, v4, vcc
	global_load_ubyte v6, v[6:7], off offset:32
	s_waitcnt vmcnt(1)
	v_lshrrev_b32_e32 v7, 2, v5
	s_waitcnt vmcnt(0)
	v_lshrrev_b16_e32 v6, 4, v6
	v_mov_b32_e32 v8, v97
	s_cbranch_execz .LBB35_180
	s_branch .LBB35_181
.LBB35_178:                             ;   in Loop: Header=BB35_3 Depth=1
                                        ; implicit-def: $vgpr8
                                        ; implicit-def: $vgpr6
                                        ; implicit-def: $vgpr7
	s_branch .LBB35_182
.LBB35_179:                             ;   in Loop: Header=BB35_3 Depth=1
                                        ; implicit-def: $vgpr6
                                        ; implicit-def: $vgpr7
	v_mov_b32_e32 v8, v97
.LBB35_180:                             ;   in Loop: Header=BB35_3 Depth=1
	v_add_co_u32_e32 v6, vcc, v3, v32
	v_addc_co_u32_e32 v7, vcc, 0, v4, vcc
	global_load_ubyte v6, v[6:7], off
	v_mov_b32_e32 v8, v98
	s_waitcnt vmcnt(1)
	v_mov_b32_e32 v7, v5
	s_waitcnt vmcnt(0)
	v_lshrrev_b16_e32 v6, 4, v6
.LBB35_181:                             ;   in Loop: Header=BB35_3 Depth=1
	s_cbranch_execnz .LBB35_186
.LBB35_182:                             ;   in Loop: Header=BB35_3 Depth=1
	s_cmp_lg_u32 s58, 1
	s_cbranch_scc0 .LBB35_184
; %bb.183:                              ;   in Loop: Header=BB35_3 Depth=1
	v_add_co_u32_e32 v6, vcc, v3, v32
	v_addc_co_u32_e32 v7, vcc, 0, v4, vcc
	global_load_ubyte v6, v[6:7], off
	s_waitcnt vmcnt(1)
	v_lshlrev_b32_e32 v7, 4, v5
	s_waitcnt vmcnt(0)
	v_and_b32_e32 v6, 15, v6
	v_mov_b32_e32 v8, v87
	s_cbranch_execz .LBB35_185
	s_branch .LBB35_186
.LBB35_184:                             ;   in Loop: Header=BB35_3 Depth=1
                                        ; implicit-def: $vgpr6
                                        ; implicit-def: $vgpr7
	v_mov_b32_e32 v8, v87
.LBB35_185:                             ;   in Loop: Header=BB35_3 Depth=1
	v_add_co_u32_e32 v6, vcc, v3, v32
	v_addc_co_u32_e32 v7, vcc, 0, v4, vcc
	global_load_ubyte v3, v[6:7], off offset:32
	s_waitcnt vmcnt(1)
	v_lshlrev_b32_e32 v7, 2, v5
	v_mov_b32_e32 v8, v99
	s_waitcnt vmcnt(0)
	v_and_b32_e32 v6, 15, v3
.LBB35_186:                             ;   in Loop: Header=BB35_3 Depth=1
	v_mad_i64_i32 v[0:1], s[42:43], s57, v107, v[0:1]
	v_add_co_u32_e32 v0, vcc, v0, v8
	v_addc_co_u32_e32 v1, vcc, 0, v1, vcc
	global_load_sbyte v0, v[0:1], off offset:192
	v_and_b32_e32 v1, 0xff, v6
	v_and_or_b32 v1, v7, 48, v1
	v_subrev_u32_e32 v1, 32, v1
	v_cvt_f32_i32_e32 v1, v1
	s_waitcnt vmcnt(0)
	v_cvt_f32_i32_e32 v0, v0
	v_mul_f32_e32 v0, v2, v0
	v_mul_f32_e32 v0, v0, v1
.LBB35_187:                             ;   in Loop: Header=BB35_3 Depth=1
	s_or_b64 exec, exec, s[40:41]
	ds_write_b32 v106, v0
	v_mov_b32_e32 v0, 0
	v_mov_b32_e32 v1, 0
	s_and_saveexec_b64 s[40:41], s[16:17]
	s_cbranch_execz .LBB35_189
; %bb.188:                              ;   in Loop: Header=BB35_3 Depth=1
	v_add_co_u32_e32 v2, vcc, v50, v68
	v_addc_co_u32_e32 v3, vcc, 0, v49, vcc
	global_load_dword v1, v[2:3], off
.LBB35_189:                             ;   in Loop: Header=BB35_3 Depth=1
	s_or_b64 exec, exec, s[40:41]
	s_waitcnt vmcnt(0)
	ds_write_b32 v88, v1
	s_and_saveexec_b64 s[40:41], s[18:19]
	s_cbranch_execz .LBB35_191
; %bb.190:                              ;   in Loop: Header=BB35_3 Depth=1
	v_add_co_u32_e32 v0, vcc, v48, v68
	v_addc_co_u32_e32 v1, vcc, 0, v47, vcc
	global_load_dword v0, v[0:1], off
.LBB35_191:                             ;   in Loop: Header=BB35_3 Depth=1
	s_or_b64 exec, exec, s[40:41]
	s_waitcnt vmcnt(0)
	ds_write_b32 v89, v0
	v_mov_b32_e32 v0, 0
	v_mov_b32_e32 v1, 0
	s_and_saveexec_b64 s[40:41], s[20:21]
	s_cbranch_execz .LBB35_193
; %bb.192:                              ;   in Loop: Header=BB35_3 Depth=1
	v_add_co_u32_e32 v2, vcc, v46, v68
	v_addc_co_u32_e32 v3, vcc, 0, v45, vcc
	global_load_dword v1, v[2:3], off
.LBB35_193:                             ;   in Loop: Header=BB35_3 Depth=1
	s_or_b64 exec, exec, s[40:41]
	s_waitcnt vmcnt(0)
	ds_write_b32 v90, v1
	s_and_saveexec_b64 s[40:41], s[22:23]
	s_cbranch_execz .LBB35_195
; %bb.194:                              ;   in Loop: Header=BB35_3 Depth=1
	v_add_co_u32_e32 v0, vcc, v44, v68
	v_addc_co_u32_e32 v1, vcc, 0, v43, vcc
	global_load_dword v0, v[0:1], off
.LBB35_195:                             ;   in Loop: Header=BB35_3 Depth=1
	s_or_b64 exec, exec, s[40:41]
	s_waitcnt vmcnt(0)
	ds_write_b32 v91, v0
	v_mov_b32_e32 v0, 0
	v_mov_b32_e32 v1, 0
	s_and_saveexec_b64 s[40:41], s[24:25]
	s_cbranch_execz .LBB35_197
; %bb.196:                              ;   in Loop: Header=BB35_3 Depth=1
	v_add_co_u32_e32 v2, vcc, v42, v68
	v_addc_co_u32_e32 v3, vcc, 0, v41, vcc
	global_load_dword v1, v[2:3], off
.LBB35_197:                             ;   in Loop: Header=BB35_3 Depth=1
	s_or_b64 exec, exec, s[40:41]
	s_waitcnt vmcnt(0)
	ds_write_b32 v88, v1 offset:128
	s_and_saveexec_b64 s[40:41], s[26:27]
	s_cbranch_execz .LBB35_199
; %bb.198:                              ;   in Loop: Header=BB35_3 Depth=1
	v_add_co_u32_e32 v0, vcc, v40, v68
	v_addc_co_u32_e32 v1, vcc, 0, v39, vcc
	global_load_dword v0, v[0:1], off
.LBB35_199:                             ;   in Loop: Header=BB35_3 Depth=1
	s_or_b64 exec, exec, s[40:41]
	s_waitcnt vmcnt(0)
	ds_write_b32 v92, v0
	v_mov_b32_e32 v0, 0
	v_mov_b32_e32 v1, 0
	s_and_saveexec_b64 s[40:41], s[28:29]
	s_cbranch_execz .LBB35_201
; %bb.200:                              ;   in Loop: Header=BB35_3 Depth=1
	v_add_co_u32_e32 v2, vcc, v38, v68
	v_addc_co_u32_e32 v3, vcc, 0, v37, vcc
	global_load_dword v1, v[2:3], off
.LBB35_201:                             ;   in Loop: Header=BB35_3 Depth=1
	s_or_b64 exec, exec, s[40:41]
	s_waitcnt vmcnt(0)
	ds_write_b32 v93, v1
	s_and_saveexec_b64 s[40:41], s[30:31]
	s_cbranch_execz .LBB35_2
; %bb.202:                              ;   in Loop: Header=BB35_3 Depth=1
	v_add_co_u32_e32 v0, vcc, v36, v68
	v_addc_co_u32_e32 v1, vcc, 0, v33, vcc
	global_load_dword v0, v[0:1], off
	s_branch .LBB35_2
.LBB35_203:
                                        ; implicit-def: $vgpr79
                                        ; implicit-def: $vgpr77
                                        ; implicit-def: $vgpr75
                                        ; implicit-def: $vgpr71
                                        ; implicit-def: $vgpr73
                                        ; implicit-def: $vgpr35
                                        ; implicit-def: $vgpr31
                                        ; implicit-def: $vgpr29
                                        ; implicit-def: $vgpr85
                                        ; implicit-def: $vgpr86
	s_cbranch_execnz .LBB35_205
	s_branch .LBB35_206
.LBB35_204:
	s_branch .LBB35_206
.LBB35_205:
	v_mov_b32_e32 v28, 0
	v_mov_b32_e32 v86, v69
	;; [unrolled: 1-line block ×18, first 2 shown]
.LBB35_206:
	s_lshr_b32 s16, s44, 2
	s_cmp_lg_u32 s45, 0
	v_add_u32_e32 v5, s33, v85
	v_or_b32_e32 v4, s39, v86
	s_cselect_b64 s[0:1], -1, 0
	v_cmp_gt_u32_e64 s[10:11], s36, v5
	v_cmp_gt_u32_e64 s[2:3], s38, v4
	v_cndmask_b32_e64 v1, 0, 1, s[0:1]
	v_add_u32_e32 v0, s16, v5
	s_and_b64 s[4:5], s[10:11], s[2:3]
	v_cmp_ne_u32_e64 s[0:1], 1, v1
	s_and_saveexec_b64 s[6:7], s[4:5]
	s_cbranch_execz .LBB35_210
; %bb.207:
	v_mad_u64_u32 v[2:3], s[4:5], v4, s36, v[0:1]
	v_mov_b32_e32 v3, 0
	v_lshlrev_b64 v[2:3], 2, v[2:3]
	v_mov_b32_e32 v1, s35
	v_add_co_u32_e64 v2, s[4:5], s34, v2
	s_and_b64 vcc, exec, s[0:1]
	v_addc_co_u32_e64 v3, s[4:5], v1, v3, s[4:5]
	s_cbranch_vccnz .LBB35_209
; %bb.208:
	global_load_dword v1, v[2:3], off
	s_waitcnt vmcnt(0)
	v_add_f32_e32 v78, v78, v1
.LBB35_209:
	global_store_dword v[2:3], v78, off
.LBB35_210:
	s_or_b64 exec, exec, s[6:7]
	v_or_b32_e32 v6, 1, v4
	v_cmp_gt_u32_e64 s[4:5], s38, v6
	s_and_b64 s[6:7], s[10:11], s[4:5]
	s_and_saveexec_b64 s[8:9], s[6:7]
	s_cbranch_execz .LBB35_214
; %bb.211:
	v_mad_u64_u32 v[2:3], s[6:7], v6, s36, v[0:1]
	v_mov_b32_e32 v3, 0
	v_lshlrev_b64 v[2:3], 2, v[2:3]
	v_mov_b32_e32 v1, s35
	v_add_co_u32_e64 v2, s[6:7], s34, v2
	s_and_b64 vcc, exec, s[0:1]
	v_addc_co_u32_e64 v3, s[6:7], v1, v3, s[6:7]
	s_cbranch_vccnz .LBB35_213
; %bb.212:
	global_load_dword v1, v[2:3], off
	s_waitcnt vmcnt(0)
	v_add_f32_e32 v79, v79, v1
.LBB35_213:
	global_store_dword v[2:3], v79, off
.LBB35_214:
	s_or_b64 exec, exec, s[8:9]
	v_or_b32_e32 v7, 2, v4
	v_cmp_gt_u32_e64 s[6:7], s38, v7
	s_and_b64 s[8:9], s[10:11], s[6:7]
	;; [unrolled: 22-line block ×3, first 2 shown]
	s_and_saveexec_b64 s[12:13], s[10:11]
	s_cbranch_execz .LBB35_222
; %bb.219:
	v_mad_u64_u32 v[0:1], s[10:11], v8, s36, v[0:1]
	v_mov_b32_e32 v1, 0
	v_lshlrev_b64 v[0:1], 2, v[0:1]
	v_mov_b32_e32 v2, s35
	v_add_co_u32_e64 v0, s[10:11], s34, v0
	s_and_b64 vcc, exec, s[0:1]
	v_addc_co_u32_e64 v1, s[10:11], v2, v1, s[10:11]
	s_cbranch_vccnz .LBB35_221
; %bb.220:
	global_load_dword v2, v[0:1], off
	s_waitcnt vmcnt(0)
	v_add_f32_e32 v77, v77, v2
.LBB35_221:
	global_store_dword v[0:1], v77, off
.LBB35_222:
	s_or_b64 exec, exec, s[12:13]
	v_or_b32_e32 v0, 1, v5
	v_cmp_gt_u32_e64 s[10:11], s36, v0
	v_add_u32_e32 v0, s16, v0
	s_and_b64 s[12:13], s[10:11], s[2:3]
	s_and_saveexec_b64 s[14:15], s[12:13]
	s_cbranch_execnz .LBB35_226
; %bb.223:
	s_or_b64 exec, exec, s[14:15]
	s_and_b64 s[12:13], s[10:11], s[4:5]
	s_and_saveexec_b64 s[14:15], s[12:13]
	s_cbranch_execnz .LBB35_229
.LBB35_224:
	s_or_b64 exec, exec, s[14:15]
	s_and_b64 s[12:13], s[10:11], s[6:7]
	s_and_saveexec_b64 s[14:15], s[12:13]
	s_cbranch_execnz .LBB35_232
.LBB35_225:
	s_or_b64 exec, exec, s[14:15]
	s_and_b64 s[10:11], s[10:11], s[8:9]
	s_and_saveexec_b64 s[12:13], s[10:11]
	s_cbranch_execnz .LBB35_235
	s_branch .LBB35_238
.LBB35_226:
	v_mad_u64_u32 v[2:3], s[12:13], v4, s36, v[0:1]
	v_mov_b32_e32 v3, 0
	v_lshlrev_b64 v[2:3], 2, v[2:3]
	v_mov_b32_e32 v1, s35
	v_add_co_u32_e64 v2, s[12:13], s34, v2
	s_and_b64 vcc, exec, s[0:1]
	v_addc_co_u32_e64 v3, s[12:13], v1, v3, s[12:13]
	s_cbranch_vccnz .LBB35_228
; %bb.227:
	global_load_dword v1, v[2:3], off
	s_waitcnt vmcnt(0)
	v_add_f32_e32 v74, v74, v1
.LBB35_228:
	global_store_dword v[2:3], v74, off
	s_or_b64 exec, exec, s[14:15]
	s_and_b64 s[12:13], s[10:11], s[4:5]
	s_and_saveexec_b64 s[14:15], s[12:13]
	s_cbranch_execz .LBB35_224
.LBB35_229:
	v_mad_u64_u32 v[2:3], s[12:13], v6, s36, v[0:1]
	v_mov_b32_e32 v3, 0
	v_lshlrev_b64 v[2:3], 2, v[2:3]
	v_mov_b32_e32 v1, s35
	v_add_co_u32_e64 v2, s[12:13], s34, v2
	s_and_b64 vcc, exec, s[0:1]
	v_addc_co_u32_e64 v3, s[12:13], v1, v3, s[12:13]
	s_cbranch_vccnz .LBB35_231
; %bb.230:
	global_load_dword v1, v[2:3], off
	s_waitcnt vmcnt(0)
	v_add_f32_e32 v75, v75, v1
.LBB35_231:
	global_store_dword v[2:3], v75, off
	s_or_b64 exec, exec, s[14:15]
	s_and_b64 s[12:13], s[10:11], s[6:7]
	s_and_saveexec_b64 s[14:15], s[12:13]
	s_cbranch_execz .LBB35_225
.LBB35_232:
	v_mad_u64_u32 v[2:3], s[12:13], v7, s36, v[0:1]
	v_mov_b32_e32 v3, 0
	v_lshlrev_b64 v[2:3], 2, v[2:3]
	v_mov_b32_e32 v1, s35
	v_add_co_u32_e64 v2, s[12:13], s34, v2
	s_and_b64 vcc, exec, s[0:1]
	v_addc_co_u32_e64 v3, s[12:13], v1, v3, s[12:13]
	s_cbranch_vccnz .LBB35_234
; %bb.233:
	global_load_dword v1, v[2:3], off
	s_waitcnt vmcnt(0)
	v_add_f32_e32 v70, v70, v1
.LBB35_234:
	global_store_dword v[2:3], v70, off
	s_or_b64 exec, exec, s[14:15]
	s_and_b64 s[10:11], s[10:11], s[8:9]
	s_and_saveexec_b64 s[12:13], s[10:11]
	s_cbranch_execz .LBB35_238
.LBB35_235:
	v_mad_u64_u32 v[0:1], s[10:11], v8, s36, v[0:1]
	v_mov_b32_e32 v1, 0
	v_lshlrev_b64 v[0:1], 2, v[0:1]
	v_mov_b32_e32 v2, s35
	v_add_co_u32_e64 v0, s[10:11], s34, v0
	s_and_b64 vcc, exec, s[0:1]
	v_addc_co_u32_e64 v1, s[10:11], v2, v1, s[10:11]
	s_cbranch_vccnz .LBB35_237
; %bb.236:
	global_load_dword v2, v[0:1], off
	s_waitcnt vmcnt(0)
	v_add_f32_e32 v71, v71, v2
.LBB35_237:
	global_store_dword v[0:1], v71, off
.LBB35_238:
	s_or_b64 exec, exec, s[12:13]
	v_or_b32_e32 v0, 2, v5
	v_cmp_gt_u32_e64 s[10:11], s36, v0
	v_add_u32_e32 v0, s16, v0
	s_and_b64 s[12:13], s[10:11], s[2:3]
	s_and_saveexec_b64 s[14:15], s[12:13]
	s_cbranch_execnz .LBB35_242
; %bb.239:
	s_or_b64 exec, exec, s[14:15]
	s_and_b64 s[12:13], s[10:11], s[4:5]
	s_and_saveexec_b64 s[14:15], s[12:13]
	s_cbranch_execnz .LBB35_245
.LBB35_240:
	s_or_b64 exec, exec, s[14:15]
	s_and_b64 s[12:13], s[10:11], s[6:7]
	s_and_saveexec_b64 s[14:15], s[12:13]
	s_cbranch_execnz .LBB35_248
.LBB35_241:
	s_or_b64 exec, exec, s[14:15]
	s_and_b64 s[10:11], s[10:11], s[8:9]
	s_and_saveexec_b64 s[12:13], s[10:11]
	s_cbranch_execnz .LBB35_251
	s_branch .LBB35_254
.LBB35_242:
	v_mad_u64_u32 v[2:3], s[12:13], v4, s36, v[0:1]
	v_mov_b32_e32 v3, 0
	v_lshlrev_b64 v[2:3], 2, v[2:3]
	v_mov_b32_e32 v1, s35
	v_add_co_u32_e64 v2, s[12:13], s34, v2
	s_and_b64 vcc, exec, s[0:1]
	v_addc_co_u32_e64 v3, s[12:13], v1, v3, s[12:13]
	s_cbranch_vccnz .LBB35_244
; %bb.243:
	global_load_dword v1, v[2:3], off
	s_waitcnt vmcnt(0)
	v_add_f32_e32 v72, v72, v1
.LBB35_244:
	global_store_dword v[2:3], v72, off
	s_or_b64 exec, exec, s[14:15]
	s_and_b64 s[12:13], s[10:11], s[4:5]
	s_and_saveexec_b64 s[14:15], s[12:13]
	s_cbranch_execz .LBB35_240
.LBB35_245:
	v_mad_u64_u32 v[2:3], s[12:13], v6, s36, v[0:1]
	v_mov_b32_e32 v3, 0
	v_lshlrev_b64 v[2:3], 2, v[2:3]
	v_mov_b32_e32 v1, s35
	v_add_co_u32_e64 v2, s[12:13], s34, v2
	s_and_b64 vcc, exec, s[0:1]
	v_addc_co_u32_e64 v3, s[12:13], v1, v3, s[12:13]
	s_cbranch_vccnz .LBB35_247
; %bb.246:
	global_load_dword v1, v[2:3], off
	s_waitcnt vmcnt(0)
	v_add_f32_e32 v73, v73, v1
.LBB35_247:
	global_store_dword v[2:3], v73, off
	s_or_b64 exec, exec, s[14:15]
	s_and_b64 s[12:13], s[10:11], s[6:7]
	s_and_saveexec_b64 s[14:15], s[12:13]
	s_cbranch_execz .LBB35_241
.LBB35_248:
	v_mad_u64_u32 v[2:3], s[12:13], v7, s36, v[0:1]
	v_mov_b32_e32 v3, 0
	v_lshlrev_b64 v[2:3], 2, v[2:3]
	v_mov_b32_e32 v1, s35
	v_add_co_u32_e64 v2, s[12:13], s34, v2
	s_and_b64 vcc, exec, s[0:1]
	v_addc_co_u32_e64 v3, s[12:13], v1, v3, s[12:13]
	s_cbranch_vccnz .LBB35_250
; %bb.249:
	global_load_dword v1, v[2:3], off
	s_waitcnt vmcnt(0)
	v_add_f32_e32 v34, v34, v1
.LBB35_250:
	global_store_dword v[2:3], v34, off
	s_or_b64 exec, exec, s[14:15]
	s_and_b64 s[10:11], s[10:11], s[8:9]
	s_and_saveexec_b64 s[12:13], s[10:11]
	s_cbranch_execz .LBB35_254
.LBB35_251:
	v_mad_u64_u32 v[0:1], s[10:11], v8, s36, v[0:1]
	v_mov_b32_e32 v1, 0
	v_lshlrev_b64 v[0:1], 2, v[0:1]
	v_mov_b32_e32 v2, s35
	v_add_co_u32_e64 v0, s[10:11], s34, v0
	s_and_b64 vcc, exec, s[0:1]
	v_addc_co_u32_e64 v1, s[10:11], v2, v1, s[10:11]
	s_cbranch_vccnz .LBB35_253
; %bb.252:
	global_load_dword v2, v[0:1], off
	s_waitcnt vmcnt(0)
	v_add_f32_e32 v35, v35, v2
.LBB35_253:
	global_store_dword v[0:1], v35, off
.LBB35_254:
	s_or_b64 exec, exec, s[12:13]
	v_or_b32_e32 v0, 3, v5
	v_cmp_gt_u32_e64 s[10:11], s36, v0
	v_add_u32_e32 v0, s16, v0
	s_and_b64 s[2:3], s[10:11], s[2:3]
	s_and_saveexec_b64 s[12:13], s[2:3]
	s_cbranch_execnz .LBB35_259
; %bb.255:
	s_or_b64 exec, exec, s[12:13]
	s_and_b64 s[2:3], s[10:11], s[4:5]
	s_and_saveexec_b64 s[4:5], s[2:3]
	s_cbranch_execnz .LBB35_262
.LBB35_256:
	s_or_b64 exec, exec, s[4:5]
	s_and_b64 s[2:3], s[10:11], s[6:7]
	s_and_saveexec_b64 s[4:5], s[2:3]
	s_cbranch_execnz .LBB35_265
.LBB35_257:
	s_or_b64 exec, exec, s[4:5]
	s_and_b64 s[2:3], s[10:11], s[8:9]
	s_and_saveexec_b64 s[4:5], s[2:3]
	s_cbranch_execnz .LBB35_268
.LBB35_258:
	s_endpgm
.LBB35_259:
	v_mad_u64_u32 v[2:3], s[2:3], v4, s36, v[0:1]
	v_mov_b32_e32 v3, 0
	v_lshlrev_b64 v[2:3], 2, v[2:3]
	v_mov_b32_e32 v1, s35
	v_add_co_u32_e64 v2, s[2:3], s34, v2
	s_and_b64 vcc, exec, s[0:1]
	v_addc_co_u32_e64 v3, s[2:3], v1, v3, s[2:3]
	s_cbranch_vccnz .LBB35_261
; %bb.260:
	global_load_dword v1, v[2:3], off
	s_waitcnt vmcnt(0)
	v_add_f32_e32 v30, v30, v1
.LBB35_261:
	global_store_dword v[2:3], v30, off
	s_or_b64 exec, exec, s[12:13]
	s_and_b64 s[2:3], s[10:11], s[4:5]
	s_and_saveexec_b64 s[4:5], s[2:3]
	s_cbranch_execz .LBB35_256
.LBB35_262:
	v_mad_u64_u32 v[2:3], s[2:3], v6, s36, v[0:1]
	v_mov_b32_e32 v3, 0
	v_lshlrev_b64 v[2:3], 2, v[2:3]
	v_mov_b32_e32 v1, s35
	v_add_co_u32_e64 v2, s[2:3], s34, v2
	s_and_b64 vcc, exec, s[0:1]
	v_addc_co_u32_e64 v3, s[2:3], v1, v3, s[2:3]
	s_cbranch_vccnz .LBB35_264
; %bb.263:
	global_load_dword v1, v[2:3], off
	s_waitcnt vmcnt(0)
	v_add_f32_e32 v31, v31, v1
.LBB35_264:
	global_store_dword v[2:3], v31, off
	s_or_b64 exec, exec, s[4:5]
	s_and_b64 s[2:3], s[10:11], s[6:7]
	s_and_saveexec_b64 s[4:5], s[2:3]
	s_cbranch_execz .LBB35_257
.LBB35_265:
	v_mad_u64_u32 v[2:3], s[2:3], v7, s36, v[0:1]
	v_mov_b32_e32 v3, 0
	v_lshlrev_b64 v[2:3], 2, v[2:3]
	v_mov_b32_e32 v1, s35
	v_add_co_u32_e64 v2, s[2:3], s34, v2
	s_and_b64 vcc, exec, s[0:1]
	v_addc_co_u32_e64 v3, s[2:3], v1, v3, s[2:3]
	s_cbranch_vccnz .LBB35_267
; %bb.266:
	global_load_dword v1, v[2:3], off
	s_waitcnt vmcnt(0)
	v_add_f32_e32 v28, v28, v1
.LBB35_267:
	global_store_dword v[2:3], v28, off
	s_or_b64 exec, exec, s[4:5]
	s_and_b64 s[2:3], s[10:11], s[8:9]
	s_and_saveexec_b64 s[4:5], s[2:3]
	s_cbranch_execz .LBB35_258
.LBB35_268:
	v_mad_u64_u32 v[0:1], s[2:3], v8, s36, v[0:1]
	v_mov_b32_e32 v1, 0
	v_lshlrev_b64 v[0:1], 2, v[0:1]
	v_mov_b32_e32 v2, s35
	s_and_b64 vcc, exec, s[0:1]
	v_add_co_u32_e64 v0, s[0:1], s34, v0
	v_addc_co_u32_e64 v1, s[0:1], v2, v1, s[0:1]
	s_cbranch_vccnz .LBB35_270
; %bb.269:
	global_load_dword v2, v[0:1], off
	s_waitcnt vmcnt(0)
	v_add_f32_e32 v29, v29, v2
.LBB35_270:
	global_store_dword v[0:1], v29, off
	s_endpgm
	.section	.rodata,"a",@progbits
	.p2align	6, 0x0
	.amdhsa_kernel gemm_q6k_tiled_v2
		.amdhsa_group_segment_fixed_size 16384
		.amdhsa_private_segment_fixed_size 0
		.amdhsa_kernarg_size 52
		.amdhsa_user_sgpr_count 6
		.amdhsa_user_sgpr_private_segment_buffer 1
		.amdhsa_user_sgpr_dispatch_ptr 0
		.amdhsa_user_sgpr_queue_ptr 0
		.amdhsa_user_sgpr_kernarg_segment_ptr 1
		.amdhsa_user_sgpr_dispatch_id 0
		.amdhsa_user_sgpr_flat_scratch_init 0
		.amdhsa_user_sgpr_kernarg_preload_length 0
		.amdhsa_user_sgpr_kernarg_preload_offset 0
		.amdhsa_user_sgpr_private_segment_size 0
		.amdhsa_uses_dynamic_stack 0
		.amdhsa_system_sgpr_private_segment_wavefront_offset 0
		.amdhsa_system_sgpr_workgroup_id_x 1
		.amdhsa_system_sgpr_workgroup_id_y 1
		.amdhsa_system_sgpr_workgroup_id_z 0
		.amdhsa_system_sgpr_workgroup_info 0
		.amdhsa_system_vgpr_workitem_id 0
		.amdhsa_next_free_vgpr 118
		.amdhsa_next_free_sgpr 62
		.amdhsa_accum_offset 120
		.amdhsa_reserve_vcc 1
		.amdhsa_reserve_flat_scratch 0
		.amdhsa_float_round_mode_32 0
		.amdhsa_float_round_mode_16_64 0
		.amdhsa_float_denorm_mode_32 3
		.amdhsa_float_denorm_mode_16_64 3
		.amdhsa_dx10_clamp 1
		.amdhsa_ieee_mode 1
		.amdhsa_fp16_overflow 0
		.amdhsa_tg_split 0
		.amdhsa_exception_fp_ieee_invalid_op 0
		.amdhsa_exception_fp_denorm_src 0
		.amdhsa_exception_fp_ieee_div_zero 0
		.amdhsa_exception_fp_ieee_overflow 0
		.amdhsa_exception_fp_ieee_underflow 0
		.amdhsa_exception_fp_ieee_inexact 0
		.amdhsa_exception_int_div_zero 0
	.end_amdhsa_kernel
	.text
.Lfunc_end35:
	.size	gemm_q6k_tiled_v2, .Lfunc_end35-gemm_q6k_tiled_v2
                                        ; -- End function
	.section	.AMDGPU.csdata,"",@progbits
; Kernel info:
; codeLenInByte = 10416
; NumSgprs: 66
; NumVgprs: 118
; NumAgprs: 0
; TotalNumVgprs: 118
; ScratchSize: 0
; MemoryBound: 0
; FloatMode: 240
; IeeeMode: 1
; LDSByteSize: 16384 bytes/workgroup (compile time only)
; SGPRBlocks: 8
; VGPRBlocks: 14
; NumSGPRsForWavesPerEU: 66
; NumVGPRsForWavesPerEU: 118
; AccumOffset: 120
; Occupancy: 4
; WaveLimiterHint : 0
; COMPUTE_PGM_RSRC2:SCRATCH_EN: 0
; COMPUTE_PGM_RSRC2:USER_SGPR: 6
; COMPUTE_PGM_RSRC2:TRAP_HANDLER: 0
; COMPUTE_PGM_RSRC2:TGID_X_EN: 1
; COMPUTE_PGM_RSRC2:TGID_Y_EN: 1
; COMPUTE_PGM_RSRC2:TGID_Z_EN: 0
; COMPUTE_PGM_RSRC2:TIDIG_COMP_CNT: 0
; COMPUTE_PGM_RSRC3_GFX90A:ACCUM_OFFSET: 29
; COMPUTE_PGM_RSRC3_GFX90A:TG_SPLIT: 0
	.text
	.protected	gemm_q5k_tiled_v2       ; -- Begin function gemm_q5k_tiled_v2
	.globl	gemm_q5k_tiled_v2
	.p2align	8
	.type	gemm_q5k_tiled_v2,@function
gemm_q5k_tiled_v2:                      ; @gemm_q5k_tiled_v2
; %bb.0:
	s_load_dwordx4 s[36:39], s[4:5], 0x0
	s_load_dwordx2 s[44:45], s[4:5], 0x10
	s_load_dwordx4 s[40:43], s[4:5], 0x18
	s_load_dwordx2 s[46:47], s[4:5], 0x2c
	v_and_b32_e32 v1, 15, v0
	s_lshl_b32 s33, s6, 6
	s_waitcnt lgkmcnt(0)
	s_lshl_b32 s43, s7, 6
	v_lshrrev_b32_e32 v2, 4, v0
	s_cmp_gt_u32 s41, 31
	v_lshlrev_b32_e32 v85, 2, v2
	v_lshlrev_b32_e32 v86, 2, v1
	s_cbranch_scc0 .LBB36_227
; %bb.1:
	v_and_b32_e32 v32, 31, v0
	v_lshlrev_b32_e32 v3, 6, v32
	v_lshrrev_b32_e32 v4, 5, v0
	v_or_b32_e32 v6, v4, v3
	v_lshlrev_b32_e32 v87, 2, v6
	v_add_u32_e32 v6, 0x100, v0
	v_lshrrev_b32_e32 v6, 5, v6
	v_or_b32_e32 v8, v6, v3
	v_lshlrev_b32_e32 v88, 2, v8
	v_add_u32_e32 v8, 0x200, v0
	v_lshrrev_b32_e32 v8, 5, v8
	s_load_dwordx2 s[34:35], s[4:5], 0x24
	v_or_b32_e32 v10, v8, v3
	v_lshlrev_b32_e32 v89, 2, v10
	v_add_u32_e32 v10, 0x300, v0
	v_add_u32_e32 v14, 0x500, v0
	;; [unrolled: 1-line block ×4, first 2 shown]
	v_lshrrev_b32_e32 v10, 5, v10
	v_lshrrev_b32_e32 v14, 5, v14
	;; [unrolled: 1-line block ×4, first 2 shown]
	v_or_b32_e32 v12, v10, v3
	v_add_lshl_u32 v91, v14, v3, 2
	v_add_lshl_u32 v92, v16, v3, 2
	;; [unrolled: 1-line block ×3, first 2 shown]
	v_or_b32_e32 v3, s43, v4
	s_lshr_b32 s54, s41, 5
	s_lshr_b32 s0, s41, 8
	v_cmp_gt_u32_e64 s[16:17], s42, v3
	v_or_b32_e32 v3, s43, v6
	s_waitcnt lgkmcnt(0)
	s_add_u32 s56, s36, s34
	v_cmp_gt_u32_e64 s[18:19], s42, v3
	v_or_b32_e32 v3, s43, v8
	s_addc_u32 s57, s37, 0
	v_lshlrev_b32_e32 v90, 2, v12
	v_or_b32_e32 v12, 32, v4
	v_add_u32_e32 v18, s33, v0
	v_cmp_gt_u32_e64 s[20:21], s42, v3
	v_or_b32_e32 v3, s43, v10
	v_add_u32_e32 v0, s43, v0
	s_and_b32 s35, s35, -4
	v_lshlrev_b32_e32 v69, 2, v1
	v_cmp_gt_u32_e64 s[22:23], s42, v3
	v_or_b32_e32 v3, s43, v12
	v_cmp_gt_u32_e64 s[30:31], s42, v0
	v_lshlrev_b32_e32 v95, 4, v1
	v_mad_u64_u32 v[0:1], s[36:37], s41, v0, 0
	s_add_u32 s35, s38, s35
	v_add_u32_e32 v15, s33, v14
	v_cmp_gt_u32_e64 s[24:25], s42, v3
	v_add_u32_e32 v3, s43, v14
	v_mov_b32_e32 v14, 0x2000
	v_lshlrev_b64 v[0:1], 2, v[0:1]
	s_addc_u32 s38, s39, 0
	v_lshlrev_b32_e32 v51, 2, v2
	v_or_b32_e32 v13, s33, v12
	v_add_u32_e32 v12, s43, v16
	v_lshl_or_b32 v94, v2, 4, v14
	v_mov_b32_e32 v2, s38
	v_add_co_u32_e32 v36, vcc, s35, v0
	v_addc_co_u32_e32 v33, vcc, v2, v1, vcc
	v_mad_u64_u32 v[0:1], s[36:37], s41, v12, 0
	v_lshlrev_b64 v[0:1], 2, v[0:1]
	v_add_co_u32_e32 v38, vcc, s35, v0
	v_addc_co_u32_e32 v37, vcc, v2, v1, vcc
	v_mad_u64_u32 v[0:1], s[36:37], s41, v3, 0
	v_lshlrev_b64 v[0:1], 2, v[0:1]
	v_add_co_u32_e32 v40, vcc, s35, v0
	v_addc_co_u32_e32 v39, vcc, v2, v1, vcc
	v_add_u32_e32 v2, s43, v4
	v_add_u32_e32 v0, 32, v2
	v_mad_u64_u32 v[0:1], s[36:37], s41, v0, 0
	v_lshlrev_b64 v[0:1], 2, v[0:1]
	v_cmp_gt_u32_e64 s[26:27], s42, v3
	v_mov_b32_e32 v3, s38
	v_add_co_u32_e32 v42, vcc, s35, v0
	v_add_u32_e32 v0, s43, v10
	v_addc_co_u32_e32 v41, vcc, v3, v1, vcc
	v_mad_u64_u32 v[0:1], s[36:37], s41, v0, 0
	v_lshlrev_b64 v[0:1], 2, v[0:1]
	v_add_co_u32_e32 v44, vcc, s35, v0
	v_add_u32_e32 v0, s43, v8
	v_addc_co_u32_e32 v43, vcc, v3, v1, vcc
	v_mad_u64_u32 v[0:1], s[36:37], s41, v0, 0
	v_lshlrev_b64 v[0:1], 2, v[0:1]
	;; [unrolled: 5-line block ×3, first 2 shown]
	v_add_co_u32_e32 v48, vcc, s35, v0
	v_addc_co_u32_e32 v47, vcc, v3, v1, vcc
	v_mad_u64_u32 v[0:1], s[36:37], s41, v2, 0
	v_lshlrev_b64 v[0:1], 2, v[0:1]
	s_mul_i32 s34, s0, 0xb0
	v_mov_b32_e32 v35, 0
	v_or_b32_e32 v5, s33, v4
	v_or_b32_e32 v7, s33, v6
	;; [unrolled: 1-line block ×4, first 2 shown]
	v_add_u32_e32 v17, s33, v16
	v_mov_b32_e32 v2, s38
	v_add_co_u32_e32 v50, vcc, s35, v0
	s_mov_b32 s55, 0
	v_cmp_gt_u32_e64 s[0:1], s40, v5
	v_cmp_gt_u32_e64 s[2:3], s40, v7
	;; [unrolled: 1-line block ×9, first 2 shown]
	v_addc_co_u32_e32 v49, vcc, v2, v1, vcc
	s_mov_b32 s41, 0x6050400
	s_mov_b32 s58, 0x7f800000
	;; [unrolled: 1-line block ×3, first 2 shown]
	s_movk_i32 s60, 0x80
	v_mov_b32_e32 v34, v35
	v_mov_b32_e32 v73, v35
	;; [unrolled: 1-line block ×11, first 2 shown]
	s_mov_b32 s61, 0
	v_mov_b32_e32 v28, v35
	v_mov_b32_e32 v29, v35
	;; [unrolled: 1-line block ×4, first 2 shown]
	v_mad_u64_u32 v[52:53], s[36:37], s34, v5, 0
	v_or_b32_e32 v96, 0x2000, v87
	v_mad_u64_u32 v[54:55], s[36:37], s34, v7, 0
	v_or_b32_e32 v97, 0x2000, v88
	;; [unrolled: 2-line block ×4, first 2 shown]
	v_mad_u64_u32 v[60:61], s[36:37], s34, v13, 0
	v_mad_u64_u32 v[62:63], s[36:37], s34, v15, 0
	v_add_u32_e32 v100, 0x2000, v91
	v_mad_u64_u32 v[64:65], s[36:37], s34, v17, 0
	v_add_u32_e32 v101, 0x2000, v92
	;; [unrolled: 2-line block ×3, first 2 shown]
	v_lshlrev_b32_e32 v68, 2, v32
	s_branch .LBB36_3
.LBB36_2:                               ;   in Loop: Header=BB36_3 Depth=1
	s_or_b64 exec, exec, s[34:35]
	s_waitcnt vmcnt(0)
	ds_write_b32 v93, v0
	s_waitcnt lgkmcnt(0)
	s_barrier
	ds_read_b128 v[12:15], v95
	ds_read_b128 v[80:83], v94
	ds_read_b128 v[16:19], v94 offset:256
	ds_read_b128 v[24:27], v95 offset:256
	;; [unrolled: 1-line block ×6, first 2 shown]
	v_add_co_u32_e32 v36, vcc, s60, v36
	s_waitcnt lgkmcnt(6)
	v_fmac_f32_e32 v78, v80, v12
	v_fmac_f32_e32 v79, v80, v13
	;; [unrolled: 1-line block ×4, first 2 shown]
	v_mov_b32_e32 v80, v83
	v_fmac_f32_e32 v74, v81, v12
	v_fmac_f32_e32 v75, v81, v13
	;; [unrolled: 1-line block ×8, first 2 shown]
	v_pk_fma_f32 v[30:31], v[80:81], v[12:13], v[30:31] op_sel_hi:[0,1,1]
	v_pk_fma_f32 v[28:29], v[80:81], v[14:15], v[28:29] op_sel_hi:[0,1,1]
	ds_read_b128 v[80:83], v95 offset:512
	s_waitcnt lgkmcnt(6)
	v_mov_b32_e32 v84, v19
	s_waitcnt lgkmcnt(5)
	v_fmac_f32_e32 v78, v16, v24
	v_fmac_f32_e32 v79, v16, v25
	;; [unrolled: 1-line block ×12, first 2 shown]
	ds_read_b128 v[16:19], v94 offset:1536
	ds_read_b128 v[12:15], v94 offset:1792
	v_pk_fma_f32 v[30:31], v[84:85], v[24:25], v[30:31] op_sel_hi:[0,1,1]
	v_pk_fma_f32 v[28:29], v[84:85], v[26:27], v[28:29] op_sel_hi:[0,1,1]
	ds_read_b128 v[24:27], v95 offset:768
	s_waitcnt lgkmcnt(3)
	v_fmac_f32_e32 v78, v20, v80
	v_fmac_f32_e32 v79, v20, v81
	;; [unrolled: 1-line block ×4, first 2 shown]
	v_mov_b32_e32 v20, v23
	v_fmac_f32_e32 v74, v21, v80
	v_fmac_f32_e32 v75, v21, v81
	v_fmac_f32_e32 v72, v22, v80
	v_fmac_f32_e32 v73, v22, v81
	v_fmac_f32_e32 v70, v21, v82
	v_fmac_f32_e32 v71, v21, v83
	v_fmac_f32_e32 v34, v22, v82
	v_fmac_f32_e32 v35, v22, v83
	v_pk_fma_f32 v[80:81], v[20:21], v[80:81], v[30:31] op_sel_hi:[0,1,1]
	v_pk_fma_f32 v[82:83], v[20:21], v[82:83], v[28:29] op_sel_hi:[0,1,1]
	ds_read_b128 v[28:31], v95 offset:1024
	v_mov_b32_e32 v84, v11
	s_waitcnt lgkmcnt(1)
	v_fmac_f32_e32 v78, v8, v24
	v_fmac_f32_e32 v79, v8, v25
	;; [unrolled: 1-line block ×12, first 2 shown]
	ds_read_b128 v[20:23], v94 offset:2048
	ds_read_b128 v[8:11], v94 offset:2304
	v_pk_fma_f32 v[80:81], v[84:85], v[24:25], v[80:81] op_sel_hi:[0,1,1]
	v_pk_fma_f32 v[82:83], v[84:85], v[26:27], v[82:83] op_sel_hi:[0,1,1]
	ds_read_b128 v[24:27], v95 offset:1280
	v_mov_b32_e32 v84, v7
	s_waitcnt lgkmcnt(3)
	v_fmac_f32_e32 v78, v4, v28
	v_fmac_f32_e32 v79, v4, v29
	;; [unrolled: 1-line block ×6, first 2 shown]
	v_pk_fma_f32 v[28:29], v[84:85], v[28:29], v[80:81] op_sel_hi:[0,1,1]
	v_fmac_f32_e32 v76, v4, v30
	v_fmac_f32_e32 v77, v4, v31
	v_fmac_f32_e32 v70, v5, v30
	v_fmac_f32_e32 v71, v5, v31
	v_fmac_f32_e32 v34, v6, v30
	v_fmac_f32_e32 v35, v6, v31
	ds_read_b128 v[4:7], v95 offset:1536
	v_pk_fma_f32 v[80:81], v[84:85], v[30:31], v[82:83] op_sel_hi:[0,1,1]
	v_mov_b32_e32 v82, v3
	s_waitcnt lgkmcnt(1)
	v_fmac_f32_e32 v78, v0, v24
	v_fmac_f32_e32 v79, v0, v25
	;; [unrolled: 1-line block ×6, first 2 shown]
	v_pk_fma_f32 v[24:25], v[82:83], v[24:25], v[28:29] op_sel_hi:[0,1,1]
	ds_read_b128 v[28:31], v95 offset:1792
	v_mov_b32_e32 v84, v19
	v_fmac_f32_e32 v76, v0, v26
	v_fmac_f32_e32 v77, v0, v27
	;; [unrolled: 1-line block ×6, first 2 shown]
	s_waitcnt lgkmcnt(1)
	v_pk_fma_f32 v[0:1], v[84:85], v[4:5], v[24:25] op_sel_hi:[0,1,1]
	v_mov_b32_e32 v24, v15
	v_fmac_f32_e32 v78, v16, v4
	v_fmac_f32_e32 v79, v16, v5
	;; [unrolled: 1-line block ×6, first 2 shown]
	v_pk_fma_f32 v[4:5], v[82:83], v[26:27], v[80:81] op_sel_hi:[0,1,1]
	v_fmac_f32_e32 v76, v16, v6
	v_fmac_f32_e32 v77, v16, v7
	;; [unrolled: 1-line block ×6, first 2 shown]
	ds_read_b128 v[16:19], v95 offset:2304
	s_waitcnt lgkmcnt(1)
	v_pk_fma_f32 v[26:27], v[24:25], v[28:29], v[0:1] op_sel_hi:[0,1,1]
	ds_read_b128 v[0:3], v95 offset:2048
	v_fmac_f32_e32 v78, v12, v28
	v_fmac_f32_e32 v79, v12, v29
	;; [unrolled: 1-line block ×6, first 2 shown]
	v_mov_b32_e32 v28, v23
	s_waitcnt lgkmcnt(0)
	v_fmac_f32_e32 v78, v20, v0
	v_fmac_f32_e32 v79, v20, v1
	;; [unrolled: 1-line block ×6, first 2 shown]
	v_pk_fma_f32 v[0:1], v[28:29], v[0:1], v[26:27] op_sel_hi:[0,1,1]
	v_pk_fma_f32 v[4:5], v[84:85], v[6:7], v[4:5] op_sel_hi:[0,1,1]
	v_mov_b32_e32 v6, v11
	v_pk_fma_f32 v[80:81], v[6:7], v[16:17], v[0:1] op_sel_hi:[0,1,1]
	v_pk_fma_f32 v[0:1], v[24:25], v[30:31], v[4:5] op_sel_hi:[0,1,1]
	v_fmac_f32_e32 v76, v12, v30
	v_fmac_f32_e32 v77, v12, v31
	;; [unrolled: 1-line block ×6, first 2 shown]
	v_pk_fma_f32 v[0:1], v[28:29], v[2:3], v[0:1] op_sel_hi:[0,1,1]
	ds_read_b128 v[28:31], v94 offset:2560
	v_fmac_f32_e32 v76, v20, v2
	v_fmac_f32_e32 v77, v20, v3
	v_fmac_f32_e32 v70, v21, v2
	v_fmac_f32_e32 v71, v21, v3
	v_fmac_f32_e32 v34, v22, v2
	v_fmac_f32_e32 v35, v22, v3
	ds_read_b128 v[20:23], v94 offset:2816
	v_fmac_f32_e32 v78, v8, v16
	v_fmac_f32_e32 v79, v8, v17
	;; [unrolled: 1-line block ×12, first 2 shown]
	v_pk_fma_f32 v[82:83], v[6:7], v[18:19], v[0:1] op_sel_hi:[0,1,1]
	s_waitcnt lgkmcnt(1)
	v_mov_b32_e32 v84, v31
	ds_read_b128 v[24:27], v95 offset:2560
	ds_read_b128 v[16:19], v95 offset:2816
	;; [unrolled: 1-line block ×6, first 2 shown]
	s_waitcnt lgkmcnt(5)
	v_pk_fma_f32 v[72:73], v[30:31], v[24:25], v[72:73] op_sel_hi:[0,1,1]
	v_pk_fma_f32 v[78:79], v[28:29], v[24:25], v[78:79] op_sel_hi:[0,1,1]
	v_pk_fma_f32 v[74:75], v[28:29], v[24:25], v[74:75] op_sel:[1,0,0]
	v_pk_fma_f32 v[34:35], v[30:31], v[26:27], v[34:35] op_sel_hi:[0,1,1]
	v_pk_fma_f32 v[76:77], v[28:29], v[26:27], v[76:77] op_sel_hi:[0,1,1]
	v_pk_fma_f32 v[70:71], v[28:29], v[26:27], v[70:71] op_sel:[1,0,0]
	ds_read_b128 v[28:31], v95 offset:3072
	v_pk_fma_f32 v[80:81], v[84:85], v[24:25], v[80:81] op_sel_hi:[0,1,1]
	v_pk_fma_f32 v[82:83], v[84:85], v[26:27], v[82:83] op_sel_hi:[0,1,1]
	v_mov_b32_e32 v84, v23
	s_waitcnt lgkmcnt(5)
	v_pk_fma_f32 v[72:73], v[22:23], v[16:17], v[72:73] op_sel_hi:[0,1,1]
	v_pk_fma_f32 v[78:79], v[20:21], v[16:17], v[78:79] op_sel_hi:[0,1,1]
	v_pk_fma_f32 v[74:75], v[20:21], v[16:17], v[74:75] op_sel:[1,0,0]
	v_pk_fma_f32 v[34:35], v[22:23], v[18:19], v[34:35] op_sel_hi:[0,1,1]
	v_pk_fma_f32 v[76:77], v[20:21], v[18:19], v[76:77] op_sel_hi:[0,1,1]
	v_pk_fma_f32 v[70:71], v[20:21], v[18:19], v[70:71] op_sel:[1,0,0]
	ds_read_b128 v[20:23], v94 offset:4096
	ds_read_b128 v[24:27], v94 offset:4352
	v_pk_fma_f32 v[80:81], v[84:85], v[16:17], v[80:81] op_sel_hi:[0,1,1]
	v_pk_fma_f32 v[82:83], v[84:85], v[18:19], v[82:83] op_sel_hi:[0,1,1]
	ds_read_b128 v[16:19], v95 offset:3328
	s_waitcnt lgkmcnt(3)
	v_pk_fma_f32 v[72:73], v[14:15], v[28:29], v[72:73] op_sel_hi:[0,1,1]
	v_pk_fma_f32 v[78:79], v[12:13], v[28:29], v[78:79] op_sel_hi:[0,1,1]
	v_pk_fma_f32 v[74:75], v[12:13], v[28:29], v[74:75] op_sel:[1,0,0]
	v_pk_fma_f32 v[34:35], v[14:15], v[30:31], v[34:35] op_sel_hi:[0,1,1]
	v_pk_fma_f32 v[76:77], v[12:13], v[30:31], v[76:77] op_sel_hi:[0,1,1]
	v_pk_fma_f32 v[70:71], v[12:13], v[30:31], v[70:71] op_sel:[1,0,0]
	v_mov_b32_e32 v84, v15
	ds_read_b128 v[12:15], v95 offset:3584
	v_pk_fma_f32 v[80:81], v[84:85], v[28:29], v[80:81] op_sel_hi:[0,1,1]
	v_pk_fma_f32 v[82:83], v[84:85], v[30:31], v[82:83] op_sel_hi:[0,1,1]
	v_mov_b32_e32 v84, v11
	s_waitcnt lgkmcnt(1)
	v_pk_fma_f32 v[72:73], v[10:11], v[16:17], v[72:73] op_sel_hi:[0,1,1]
	v_pk_fma_f32 v[78:79], v[8:9], v[16:17], v[78:79] op_sel_hi:[0,1,1]
	v_pk_fma_f32 v[74:75], v[8:9], v[16:17], v[74:75] op_sel:[1,0,0]
	v_pk_fma_f32 v[34:35], v[10:11], v[18:19], v[34:35] op_sel_hi:[0,1,1]
	v_pk_fma_f32 v[76:77], v[8:9], v[18:19], v[76:77] op_sel_hi:[0,1,1]
	v_pk_fma_f32 v[70:71], v[8:9], v[18:19], v[70:71] op_sel:[1,0,0]
	ds_read_b128 v[8:11], v94 offset:4608
	ds_read_b128 v[28:31], v94 offset:4864
	v_pk_fma_f32 v[80:81], v[84:85], v[16:17], v[80:81] op_sel_hi:[0,1,1]
	v_pk_fma_f32 v[82:83], v[84:85], v[18:19], v[82:83] op_sel_hi:[0,1,1]
	ds_read_b128 v[16:19], v95 offset:3840
	s_waitcnt lgkmcnt(3)
	v_pk_fma_f32 v[78:79], v[4:5], v[12:13], v[78:79] op_sel_hi:[0,1,1]
	v_pk_fma_f32 v[74:75], v[4:5], v[12:13], v[74:75] op_sel:[1,0,0]
	v_pk_fma_f32 v[76:77], v[4:5], v[14:15], v[76:77] op_sel_hi:[0,1,1]
	v_pk_fma_f32 v[70:71], v[4:5], v[14:15], v[70:71] op_sel:[1,0,0]
	v_mov_b32_e32 v4, v7
	v_pk_fma_f32 v[72:73], v[6:7], v[12:13], v[72:73] op_sel_hi:[0,1,1]
	v_pk_fma_f32 v[34:35], v[6:7], v[14:15], v[34:35] op_sel_hi:[0,1,1]
	;; [unrolled: 1-line block ×4, first 2 shown]
	ds_read_b128 v[4:7], v95 offset:4096
	ds_read_b128 v[12:15], v95 offset:4352
	v_mov_b32_e32 v84, v3
	s_waitcnt lgkmcnt(2)
	v_pk_fma_f32 v[72:73], v[2:3], v[16:17], v[72:73] op_sel_hi:[0,1,1]
	v_pk_fma_f32 v[78:79], v[0:1], v[16:17], v[78:79] op_sel_hi:[0,1,1]
	v_pk_fma_f32 v[74:75], v[0:1], v[16:17], v[74:75] op_sel:[1,0,0]
	v_pk_fma_f32 v[34:35], v[2:3], v[18:19], v[34:35] op_sel_hi:[0,1,1]
	v_pk_fma_f32 v[76:77], v[0:1], v[18:19], v[76:77] op_sel_hi:[0,1,1]
	v_pk_fma_f32 v[70:71], v[0:1], v[18:19], v[70:71] op_sel:[1,0,0]
	v_pk_fma_f32 v[16:17], v[84:85], v[16:17], v[80:81] op_sel_hi:[0,1,1]
	ds_read_b128 v[0:3], v95 offset:4608
	ds_read_b128 v[80:83], v95 offset:4864
	s_waitcnt lgkmcnt(3)
	v_pk_fma_f32 v[78:79], v[20:21], v[4:5], v[78:79] op_sel_hi:[0,1,1]
	v_pk_fma_f32 v[74:75], v[20:21], v[4:5], v[74:75] op_sel:[1,0,0]
	v_pk_fma_f32 v[76:77], v[20:21], v[6:7], v[76:77] op_sel_hi:[0,1,1]
	v_pk_fma_f32 v[70:71], v[20:21], v[6:7], v[70:71] op_sel:[1,0,0]
	v_pk_fma_f32 v[72:73], v[22:23], v[4:5], v[72:73] op_sel_hi:[0,1,1]
	v_pk_fma_f32 v[34:35], v[22:23], v[6:7], v[34:35] op_sel_hi:[0,1,1]
	s_waitcnt lgkmcnt(2)
	v_pk_fma_f32 v[78:79], v[24:25], v[12:13], v[78:79] op_sel_hi:[0,1,1]
	v_pk_fma_f32 v[74:75], v[24:25], v[12:13], v[74:75] op_sel:[1,0,0]
	v_pk_fma_f32 v[76:77], v[24:25], v[14:15], v[76:77] op_sel_hi:[0,1,1]
	v_pk_fma_f32 v[24:25], v[24:25], v[14:15], v[70:71] op_sel:[1,0,0]
	v_pk_fma_f32 v[18:19], v[84:85], v[18:19], v[104:105] op_sel_hi:[0,1,1]
	v_pk_fma_f32 v[72:73], v[26:27], v[12:13], v[72:73] op_sel_hi:[0,1,1]
	v_mov_b32_e32 v84, v23
	ds_read_b128 v[20:23], v95 offset:5120
	s_waitcnt lgkmcnt(2)
	v_pk_fma_f32 v[78:79], v[8:9], v[0:1], v[78:79] op_sel_hi:[0,1,1]
	v_pk_fma_f32 v[74:75], v[8:9], v[0:1], v[74:75] op_sel:[1,0,0]
	v_pk_fma_f32 v[34:35], v[26:27], v[14:15], v[34:35] op_sel_hi:[0,1,1]
	v_pk_fma_f32 v[76:77], v[8:9], v[2:3], v[76:77] op_sel_hi:[0,1,1]
	v_pk_fma_f32 v[8:9], v[8:9], v[2:3], v[24:25] op_sel:[1,0,0]
	v_mov_b32_e32 v106, v27
	ds_read_b128 v[24:27], v94 offset:5120
	v_pk_fma_f32 v[4:5], v[84:85], v[4:5], v[16:17] op_sel_hi:[0,1,1]
	v_mov_b32_e32 v108, v11
	v_pk_fma_f32 v[4:5], v[106:107], v[12:13], v[4:5] op_sel_hi:[0,1,1]
	v_pk_fma_f32 v[72:73], v[10:11], v[0:1], v[72:73] op_sel_hi:[0,1,1]
	s_waitcnt lgkmcnt(2)
	v_pk_fma_f32 v[78:79], v[28:29], v[80:81], v[78:79] op_sel_hi:[0,1,1]
	v_pk_fma_f32 v[74:75], v[28:29], v[80:81], v[74:75] op_sel:[1,0,0]
	v_pk_fma_f32 v[34:35], v[10:11], v[2:3], v[34:35] op_sel_hi:[0,1,1]
	v_pk_fma_f32 v[104:105], v[28:29], v[82:83], v[76:77] op_sel_hi:[0,1,1]
	v_pk_fma_f32 v[28:29], v[28:29], v[82:83], v[8:9] op_sel:[1,0,0]
	v_mov_b32_e32 v110, v31
	v_pk_fma_f32 v[6:7], v[84:85], v[6:7], v[18:19] op_sel_hi:[0,1,1]
	ds_read_b128 v[16:19], v94 offset:5376
	ds_read_b128 v[8:11], v95 offset:5376
	v_pk_fma_f32 v[0:1], v[108:109], v[0:1], v[4:5] op_sel_hi:[0,1,1]
	v_pk_fma_f32 v[0:1], v[110:111], v[80:81], v[0:1] op_sel_hi:[0,1,1]
	s_waitcnt lgkmcnt(2)
	v_mov_b32_e32 v4, v27
	v_pk_fma_f32 v[72:73], v[30:31], v[80:81], v[72:73] op_sel_hi:[0,1,1]
	v_pk_fma_f32 v[34:35], v[30:31], v[82:83], v[34:35] op_sel_hi:[0,1,1]
	;; [unrolled: 1-line block ×6, first 2 shown]
	v_pk_fma_f32 v[78:79], v[24:25], v[20:21], v[74:75] op_sel:[1,0,0]
	v_pk_fma_f32 v[76:77], v[26:27], v[20:21], v[72:73] op_sel_hi:[0,1,1]
	v_pk_fma_f32 v[74:75], v[24:25], v[22:23], v[104:105] op_sel_hi:[0,1,1]
	v_pk_fma_f32 v[70:71], v[24:25], v[22:23], v[28:29] op_sel:[1,0,0]
	v_pk_fma_f32 v[28:29], v[26:27], v[22:23], v[34:35] op_sel_hi:[0,1,1]
	v_pk_fma_f32 v[0:1], v[110:111], v[82:83], v[0:1] op_sel_hi:[0,1,1]
	s_waitcnt lgkmcnt(1)
	v_mov_b32_e32 v72, v19
	v_pk_fma_f32 v[34:35], v[4:5], v[22:23], v[0:1] op_sel_hi:[0,1,1]
	ds_read_b128 v[20:23], v95 offset:5632
	ds_read_b128 v[24:27], v94 offset:5632
	;; [unrolled: 1-line block ×5, first 2 shown]
	s_waitcnt lgkmcnt(5)
	v_pk_fma_f32 v[80:81], v[16:17], v[8:9], v[112:113] op_sel_hi:[0,1,1]
	v_pk_fma_f32 v[78:79], v[16:17], v[8:9], v[78:79] op_sel:[1,0,0]
	v_pk_fma_f32 v[82:83], v[18:19], v[8:9], v[76:77] op_sel_hi:[0,1,1]
	v_pk_fma_f32 v[104:105], v[16:17], v[10:11], v[74:75] op_sel_hi:[0,1,1]
	v_pk_fma_f32 v[70:71], v[16:17], v[10:11], v[70:71] op_sel:[1,0,0]
	v_pk_fma_f32 v[106:107], v[18:19], v[10:11], v[28:29] op_sel_hi:[0,1,1]
	ds_read_b128 v[16:19], v94 offset:6656
	ds_read_b128 v[74:77], v94 offset:6912
	v_pk_fma_f32 v[8:9], v[72:73], v[8:9], v[30:31] op_sel_hi:[0,1,1]
	ds_read_b128 v[28:31], v95 offset:5888
	v_pk_fma_f32 v[10:11], v[72:73], v[10:11], v[34:35] op_sel_hi:[0,1,1]
	s_waitcnt lgkmcnt(6)
	v_pk_fma_f32 v[34:35], v[24:25], v[20:21], v[80:81] op_sel_hi:[0,1,1]
	v_pk_fma_f32 v[72:73], v[24:25], v[20:21], v[78:79] op_sel:[1,0,0]
	v_pk_fma_f32 v[78:79], v[26:27], v[20:21], v[82:83] op_sel_hi:[0,1,1]
	v_pk_fma_f32 v[80:81], v[24:25], v[22:23], v[104:105] op_sel_hi:[0,1,1]
	v_pk_fma_f32 v[24:25], v[24:25], v[22:23], v[70:71] op_sel:[1,0,0]
	v_pk_fma_f32 v[70:71], v[26:27], v[22:23], v[106:107] op_sel_hi:[0,1,1]
	v_mov_b32_e32 v26, v27
	v_pk_fma_f32 v[82:83], v[26:27], v[20:21], v[8:9] op_sel_hi:[0,1,1]
	v_pk_fma_f32 v[26:27], v[26:27], v[22:23], v[10:11] op_sel_hi:[0,1,1]
	ds_read_b128 v[20:23], v95 offset:6144
	s_waitcnt lgkmcnt(6)
	v_mov_b32_e32 v84, v15
	s_waitcnt lgkmcnt(1)
	v_pk_fma_f32 v[34:35], v[12:13], v[28:29], v[34:35] op_sel_hi:[0,1,1]
	v_pk_fma_f32 v[72:73], v[12:13], v[28:29], v[72:73] op_sel:[1,0,0]
	v_pk_fma_f32 v[78:79], v[14:15], v[28:29], v[78:79] op_sel_hi:[0,1,1]
	v_pk_fma_f32 v[80:81], v[12:13], v[30:31], v[80:81] op_sel_hi:[0,1,1]
	v_pk_fma_f32 v[104:105], v[12:13], v[30:31], v[24:25] op_sel:[1,0,0]
	v_pk_fma_f32 v[70:71], v[14:15], v[30:31], v[70:71] op_sel_hi:[0,1,1]
	ds_read_b128 v[8:11], v94 offset:7168
	ds_read_b128 v[12:15], v94 offset:7424
	v_pk_fma_f32 v[30:31], v[84:85], v[30:31], v[26:27] op_sel_hi:[0,1,1]
	ds_read_b128 v[24:27], v95 offset:6400
	v_pk_fma_f32 v[28:29], v[84:85], v[28:29], v[82:83] op_sel_hi:[0,1,1]
	s_waitcnt lgkmcnt(3)
	v_pk_fma_f32 v[34:35], v[4:5], v[20:21], v[34:35] op_sel_hi:[0,1,1]
	v_pk_fma_f32 v[72:73], v[4:5], v[20:21], v[72:73] op_sel:[1,0,0]
	v_pk_fma_f32 v[78:79], v[6:7], v[20:21], v[78:79] op_sel_hi:[0,1,1]
	v_pk_fma_f32 v[80:81], v[4:5], v[22:23], v[80:81] op_sel_hi:[0,1,1]
	v_pk_fma_f32 v[82:83], v[4:5], v[22:23], v[104:105] op_sel:[1,0,0]
	v_pk_fma_f32 v[70:71], v[6:7], v[22:23], v[70:71] op_sel_hi:[0,1,1]
	v_mov_b32_e32 v4, v7
	v_pk_fma_f32 v[28:29], v[4:5], v[20:21], v[28:29] op_sel_hi:[0,1,1]
	v_pk_fma_f32 v[30:31], v[4:5], v[22:23], v[30:31] op_sel_hi:[0,1,1]
	ds_read_b128 v[4:7], v94 offset:7680
	ds_read_b128 v[20:23], v94 offset:7936
	v_mov_b32_e32 v84, v3
	s_waitcnt lgkmcnt(2)
	v_pk_fma_f32 v[34:35], v[0:1], v[24:25], v[34:35] op_sel_hi:[0,1,1]
	v_pk_fma_f32 v[72:73], v[0:1], v[24:25], v[72:73] op_sel:[1,0,0]
	v_pk_fma_f32 v[78:79], v[2:3], v[24:25], v[78:79] op_sel_hi:[0,1,1]
	v_pk_fma_f32 v[80:81], v[0:1], v[26:27], v[80:81] op_sel_hi:[0,1,1]
	v_pk_fma_f32 v[82:83], v[0:1], v[26:27], v[82:83] op_sel:[1,0,0]
	v_pk_fma_f32 v[70:71], v[2:3], v[26:27], v[70:71] op_sel_hi:[0,1,1]
	ds_read_b128 v[0:3], v95 offset:6656
	v_pk_fma_f32 v[28:29], v[84:85], v[24:25], v[28:29] op_sel_hi:[0,1,1]
	v_pk_fma_f32 v[30:31], v[84:85], v[26:27], v[30:31] op_sel_hi:[0,1,1]
	ds_read_b128 v[24:27], v95 offset:6912
	v_mov_b32_e32 v84, v19
	s_waitcnt lgkmcnt(1)
	v_pk_fma_f32 v[28:29], v[84:85], v[0:1], v[28:29] op_sel_hi:[0,1,1]
	v_pk_fma_f32 v[34:35], v[16:17], v[0:1], v[34:35] op_sel_hi:[0,1,1]
	v_pk_fma_f32 v[72:73], v[16:17], v[0:1], v[72:73] op_sel:[1,0,0]
	v_pk_fma_f32 v[0:1], v[18:19], v[0:1], v[78:79] op_sel_hi:[0,1,1]
	v_pk_fma_f32 v[78:79], v[16:17], v[2:3], v[80:81] op_sel_hi:[0,1,1]
	v_pk_fma_f32 v[16:17], v[16:17], v[2:3], v[82:83] op_sel:[1,0,0]
	v_pk_fma_f32 v[70:71], v[18:19], v[2:3], v[70:71] op_sel_hi:[0,1,1]
	v_pk_fma_f32 v[30:31], v[84:85], v[2:3], v[30:31] op_sel_hi:[0,1,1]
	s_waitcnt lgkmcnt(0)
	v_pk_fma_f32 v[104:105], v[76:77], v[24:25], v[0:1] op_sel_hi:[0,1,1]
	ds_read_b128 v[0:3], v95 offset:7168
	v_pk_fma_f32 v[108:109], v[74:75], v[26:27], v[16:17] op_sel:[1,0,0]
	ds_read_b128 v[16:19], v95 offset:7424
	v_mov_b32_e32 v80, v77
	v_addc_co_u32_e32 v33, vcc, 0, v33, vcc
	v_pk_fma_f32 v[28:29], v[80:81], v[24:25], v[28:29] op_sel_hi:[0,1,1]
	v_mov_b32_e32 v82, v11
	v_add_co_u32_e32 v38, vcc, s60, v38
	v_pk_fma_f32 v[34:35], v[74:75], v[24:25], v[34:35] op_sel_hi:[0,1,1]
	v_pk_fma_f32 v[72:73], v[74:75], v[24:25], v[72:73] op_sel:[1,0,0]
	s_waitcnt lgkmcnt(1)
	v_pk_fma_f32 v[24:25], v[82:83], v[0:1], v[28:29] op_sel_hi:[0,1,1]
	v_mov_b32_e32 v28, v15
	v_addc_co_u32_e32 v37, vcc, 0, v37, vcc
	v_pk_fma_f32 v[106:107], v[74:75], v[26:27], v[78:79] op_sel_hi:[0,1,1]
	v_pk_fma_f32 v[110:111], v[76:77], v[26:27], v[70:71] op_sel_hi:[0,1,1]
	;; [unrolled: 1-line block ×3, first 2 shown]
	s_waitcnt lgkmcnt(0)
	v_pk_fma_f32 v[70:71], v[28:29], v[16:17], v[24:25] op_sel_hi:[0,1,1]
	ds_read_b128 v[24:27], v95 offset:7680
	v_add_co_u32_e32 v40, vcc, s60, v40
	v_pk_fma_f32 v[30:31], v[82:83], v[2:3], v[30:31] op_sel_hi:[0,1,1]
	ds_read_b128 v[80:83], v95 offset:7936
	v_addc_co_u32_e32 v39, vcc, 0, v39, vcc
	v_add_co_u32_e32 v42, vcc, s60, v42
	v_pk_fma_f32 v[34:35], v[8:9], v[0:1], v[34:35] op_sel_hi:[0,1,1]
	v_addc_co_u32_e32 v41, vcc, 0, v41, vcc
	v_pk_fma_f32 v[34:35], v[12:13], v[16:17], v[34:35] op_sel_hi:[0,1,1]
	v_add_co_u32_e32 v44, vcc, s60, v44
	s_waitcnt lgkmcnt(1)
	v_pk_fma_f32 v[34:35], v[4:5], v[24:25], v[34:35] op_sel_hi:[0,1,1]
	v_addc_co_u32_e32 v43, vcc, 0, v43, vcc
	s_waitcnt lgkmcnt(0)
	v_pk_fma_f32 v[78:79], v[20:21], v[80:81], v[34:35] op_sel_hi:[0,1,1]
	v_pk_fma_f32 v[34:35], v[8:9], v[0:1], v[72:73] op_sel:[1,0,0]
	v_pk_fma_f32 v[0:1], v[10:11], v[0:1], v[104:105] op_sel_hi:[0,1,1]
	v_add_co_u32_e32 v46, vcc, s60, v46
	v_mov_b32_e32 v76, v7
	v_pk_fma_f32 v[34:35], v[12:13], v[16:17], v[34:35] op_sel:[1,0,0]
	v_pk_fma_f32 v[0:1], v[14:15], v[16:17], v[0:1] op_sel_hi:[0,1,1]
	v_addc_co_u32_e32 v45, vcc, 0, v45, vcc
	v_pk_fma_f32 v[28:29], v[28:29], v[18:19], v[30:31] op_sel_hi:[0,1,1]
	v_pk_fma_f32 v[30:31], v[76:77], v[24:25], v[70:71] op_sel_hi:[0,1,1]
	v_pk_fma_f32 v[34:35], v[4:5], v[24:25], v[34:35] op_sel:[1,0,0]
	v_pk_fma_f32 v[0:1], v[6:7], v[24:25], v[0:1] op_sel_hi:[0,1,1]
	v_pk_fma_f32 v[24:25], v[8:9], v[2:3], v[106:107] op_sel_hi:[0,1,1]
	v_pk_fma_f32 v[8:9], v[8:9], v[2:3], v[108:109] op_sel:[1,0,0]
	v_pk_fma_f32 v[2:3], v[10:11], v[2:3], v[110:111] op_sel_hi:[0,1,1]
	v_add_co_u32_e32 v48, vcc, 0x80, v48
	v_pk_fma_f32 v[24:25], v[12:13], v[18:19], v[24:25] op_sel_hi:[0,1,1]
	v_pk_fma_f32 v[8:9], v[12:13], v[18:19], v[8:9] op_sel:[1,0,0]
	v_pk_fma_f32 v[2:3], v[14:15], v[18:19], v[2:3] op_sel_hi:[0,1,1]
	v_addc_co_u32_e32 v47, vcc, 0, v47, vcc
	v_pk_fma_f32 v[72:73], v[22:23], v[80:81], v[0:1] op_sel_hi:[0,1,1]
	v_pk_fma_f32 v[0:1], v[76:77], v[26:27], v[28:29] op_sel_hi:[0,1,1]
	v_mov_b32_e32 v16, v23
	v_pk_fma_f32 v[24:25], v[4:5], v[26:27], v[24:25] op_sel_hi:[0,1,1]
	v_pk_fma_f32 v[4:5], v[4:5], v[26:27], v[8:9] op_sel:[1,0,0]
	v_pk_fma_f32 v[2:3], v[6:7], v[26:27], v[2:3] op_sel_hi:[0,1,1]
	s_add_i32 s61, s61, 1
	v_add_co_u32_e32 v50, vcc, 0x80, v50
	s_add_i32 s55, s55, 16
	v_pk_fma_f32 v[74:75], v[20:21], v[80:81], v[34:35] op_sel:[1,0,0]
	v_pk_fma_f32 v[30:31], v[16:17], v[80:81], v[30:31] op_sel_hi:[0,1,1]
	v_pk_fma_f32 v[76:77], v[20:21], v[82:83], v[24:25] op_sel_hi:[0,1,1]
	v_pk_fma_f32 v[70:71], v[20:21], v[82:83], v[4:5] op_sel:[1,0,0]
	v_pk_fma_f32 v[34:35], v[22:23], v[82:83], v[2:3] op_sel_hi:[0,1,1]
	v_pk_fma_f32 v[28:29], v[16:17], v[82:83], v[0:1] op_sel_hi:[0,1,1]
	s_cmp_eq_u32 s54, s61
	v_addc_co_u32_e32 v49, vcc, 0, v49, vcc
	s_barrier
	s_cbranch_scc1 .LBB36_228
.LBB36_3:                               ; =>This Inner Loop Header: Depth=1
	s_lshr_b32 s34, s61, 3
	s_mul_hi_u32 s35, s34, 0xb0
	s_mulk_i32 s34, 0xb0
	s_add_u32 s64, s56, s34
	s_addc_u32 s65, s57, s35
	s_and_b32 s34, s61, 1
	s_and_b32 s35, s55, 0x60
	s_cmp_eq_u32 s34, 0
	v_or_b32_e32 v2, s35, v32
	s_cselect_b64 s[34:35], -1, 0
	s_and_b32 s63, s61, 7
	s_lshl_b32 s62, 1, s63
	s_cmp_gt_u32 s63, 3
	s_cselect_b64 s[38:39], -1, 0
	v_mov_b32_e32 v0, 0
	s_and_saveexec_b64 s[36:37], s[0:1]
	s_cbranch_execz .LBB36_29
; %bb.4:                                ;   in Loop: Header=BB36_3 Depth=1
	v_mov_b32_e32 v1, s65
	v_add_co_u32_e32 v0, vcc, s64, v52
	v_addc_co_u32_e32 v1, vcc, v1, v53, vcc
	global_load_ushort v3, v[0:1], off
	s_waitcnt vmcnt(0)
	v_lshrrev_b16_e32 v6, 8, v3
	v_perm_b32 v4, v6, v3, s41
	v_lshrrev_b32_e32 v5, 7, v6
	v_bfe_u32 v6, v6, 2, 5
	v_cmp_lt_i32_e32 vcc, 30, v6
	v_lshlrev_b32_e32 v3, 31, v5
	s_and_saveexec_b64 s[48:49], vcc
	s_xor_b64 s[48:49], exec, s[48:49]
; %bb.5:                                ;   in Loop: Header=BB36_3 Depth=1
	v_lshlrev_b32_e32 v3, 31, v5
	v_lshlrev_b32_e32 v4, 13, v4
	v_or3_b32 v3, v4, v3, s58
                                        ; implicit-def: $vgpr4
                                        ; implicit-def: $vgpr6
                                        ; implicit-def: $vgpr5
; %bb.6:                                ;   in Loop: Header=BB36_3 Depth=1
	s_andn2_saveexec_b64 s[48:49], s[48:49]
	s_cbranch_execz .LBB36_14
; %bb.7:                                ;   in Loop: Header=BB36_3 Depth=1
	v_and_b32_e32 v7, 0x3ff, v4
	v_cmp_ne_u32_e32 vcc, 0, v6
	s_and_saveexec_b64 s[50:51], vcc
	s_xor_b64 s[50:51], exec, s[50:51]
; %bb.8:                                ;   in Loop: Header=BB36_3 Depth=1
	v_lshlrev_b32_e32 v3, 31, v5
	v_lshlrev_b32_e32 v4, 23, v6
	;; [unrolled: 1-line block ×3, first 2 shown]
	v_or3_b32 v3, v4, v3, v5
	v_add_u32_e32 v3, 0x38000000, v3
                                        ; implicit-def: $vgpr7
                                        ; implicit-def: $vgpr4
                                        ; implicit-def: $vgpr5
; %bb.9:                                ;   in Loop: Header=BB36_3 Depth=1
	s_andn2_saveexec_b64 s[50:51], s[50:51]
	s_cbranch_execz .LBB36_13
; %bb.10:                               ;   in Loop: Header=BB36_3 Depth=1
	v_cmp_ne_u32_e32 vcc, 0, v7
	s_and_saveexec_b64 s[52:53], vcc
	s_xor_b64 s[52:53], exec, s[52:53]
; %bb.11:                               ;   in Loop: Header=BB36_3 Depth=1
	v_ffbh_u32_e32 v3, v7
	v_xor_b32_e32 v6, 31, v3
	v_sub_u32_e32 v6, 9, v6
	v_lshlrev_b32_e32 v4, v6, v4
	v_lshlrev_b32_e32 v5, 31, v5
	v_lshlrev_b32_e32 v4, 14, v4
	v_lshlrev_b32_e32 v3, 23, v3
	v_and_or_b32 v4, v4, s59, v5
	v_sub_u32_e32 v3, v4, v3
	v_add_u32_e32 v3, 0x43000000, v3
; %bb.12:                               ;   in Loop: Header=BB36_3 Depth=1
	s_andn2_saveexec_b64 s[52:53], s[52:53]
	s_or_b64 exec, exec, s[52:53]
.LBB36_13:                              ;   in Loop: Header=BB36_3 Depth=1
	s_or_b64 exec, exec, s[50:51]
.LBB36_14:                              ;   in Loop: Header=BB36_3 Depth=1
	s_or_b64 exec, exec, s[48:49]
	global_load_ushort v4, v[0:1], off offset:2
	s_waitcnt vmcnt(0)
	v_lshrrev_b16_e32 v7, 8, v4
	v_perm_b32 v5, v7, v4, s41
	v_lshrrev_b32_e32 v6, 7, v7
	v_bfe_u32 v7, v7, 2, 5
	v_cmp_lt_i32_e32 vcc, 30, v7
	v_lshlrev_b32_e32 v4, 31, v6
	s_and_saveexec_b64 s[48:49], vcc
	s_xor_b64 s[48:49], exec, s[48:49]
; %bb.15:                               ;   in Loop: Header=BB36_3 Depth=1
	v_lshlrev_b32_e32 v4, 31, v6
	v_lshlrev_b32_e32 v5, 13, v5
	v_or3_b32 v4, v5, v4, s58
                                        ; implicit-def: $vgpr5
                                        ; implicit-def: $vgpr7
                                        ; implicit-def: $vgpr6
; %bb.16:                               ;   in Loop: Header=BB36_3 Depth=1
	s_andn2_saveexec_b64 s[48:49], s[48:49]
	s_cbranch_execz .LBB36_24
; %bb.17:                               ;   in Loop: Header=BB36_3 Depth=1
	v_and_b32_e32 v8, 0x3ff, v5
	v_cmp_ne_u32_e32 vcc, 0, v7
	s_and_saveexec_b64 s[50:51], vcc
	s_xor_b64 s[50:51], exec, s[50:51]
; %bb.18:                               ;   in Loop: Header=BB36_3 Depth=1
	v_lshlrev_b32_e32 v4, 31, v6
	v_lshlrev_b32_e32 v5, 23, v7
	;; [unrolled: 1-line block ×3, first 2 shown]
	v_or3_b32 v4, v5, v4, v6
	v_add_u32_e32 v4, 0x38000000, v4
                                        ; implicit-def: $vgpr8
                                        ; implicit-def: $vgpr5
                                        ; implicit-def: $vgpr6
; %bb.19:                               ;   in Loop: Header=BB36_3 Depth=1
	s_andn2_saveexec_b64 s[50:51], s[50:51]
	s_cbranch_execz .LBB36_23
; %bb.20:                               ;   in Loop: Header=BB36_3 Depth=1
	v_cmp_ne_u32_e32 vcc, 0, v8
	s_and_saveexec_b64 s[52:53], vcc
	s_xor_b64 s[52:53], exec, s[52:53]
; %bb.21:                               ;   in Loop: Header=BB36_3 Depth=1
	v_ffbh_u32_e32 v4, v8
	v_xor_b32_e32 v7, 31, v4
	v_sub_u32_e32 v7, 9, v7
	v_lshlrev_b32_e32 v5, v7, v5
	v_lshlrev_b32_e32 v6, 31, v6
	;; [unrolled: 1-line block ×4, first 2 shown]
	v_and_or_b32 v5, v5, s59, v6
	v_sub_u32_e32 v4, v5, v4
	v_add_u32_e32 v4, 0x43000000, v4
; %bb.22:                               ;   in Loop: Header=BB36_3 Depth=1
	s_andn2_saveexec_b64 s[52:53], s[52:53]
	s_or_b64 exec, exec, s[52:53]
.LBB36_23:                              ;   in Loop: Header=BB36_3 Depth=1
	s_or_b64 exec, exec, s[50:51]
.LBB36_24:                              ;   in Loop: Header=BB36_3 Depth=1
	s_or_b64 exec, exec, s[48:49]
	v_add_co_u32_e32 v6, vcc, v0, v2
	v_addc_co_u32_e32 v7, vcc, 0, v1, vcc
	v_add_co_u32_e32 v8, vcc, v0, v32
	v_addc_co_u32_e32 v9, vcc, 0, v1, vcc
	global_load_ubyte v5, v[6:7], off offset:48
	s_nop 0
	global_load_ubyte v6, v[8:9], off offset:16
	v_add_co_u32_e32 v0, vcc, s63, v0
	v_addc_co_u32_e32 v1, vcc, 0, v1, vcc
	s_and_b64 vcc, exec, s[38:39]
	s_cbranch_vccz .LBB36_26
; %bb.25:                               ;   in Loop: Header=BB36_3 Depth=1
	global_load_ubyte v7, v[0:1], off offset:8
	global_load_ubyte v8, v[0:1], off
	global_load_ubyte v9, v[0:1], off offset:4
	s_waitcnt vmcnt(2)
	v_and_b32_e32 v10, 15, v7
	s_waitcnt vmcnt(1)
	v_lshrrev_b16_e32 v8, 2, v8
	s_waitcnt vmcnt(0)
	v_lshrrev_b16_e32 v9, 2, v9
	v_lshrrev_b16_e32 v7, 4, v7
	v_and_b32_e32 v8, 48, v8
	v_and_b32_e32 v9, 48, v9
	v_or_b32_e32 v8, v8, v10
	v_or_b32_e32 v7, v9, v7
	s_cbranch_execz .LBB36_27
	s_branch .LBB36_28
.LBB36_26:                              ;   in Loop: Header=BB36_3 Depth=1
                                        ; implicit-def: $vgpr7
                                        ; implicit-def: $vgpr8
.LBB36_27:                              ;   in Loop: Header=BB36_3 Depth=1
	global_load_ubyte v7, v[0:1], off offset:4
	s_nop 0
	global_load_ubyte v0, v[0:1], off offset:8
	s_waitcnt vmcnt(1)
	v_and_b32_e32 v8, 63, v7
	s_waitcnt vmcnt(0)
	v_and_b32_e32 v7, 63, v0
.LBB36_28:                              ;   in Loop: Header=BB36_3 Depth=1
	s_waitcnt vmcnt(1)
	v_lshrrev_b32_e32 v0, 4, v5
	s_waitcnt vmcnt(0)
	v_and_b32_e32 v1, s62, v6
	v_cndmask_b32_e64 v0, v0, v5, s[34:35]
	v_cmp_ne_u32_e32 vcc, 0, v1
	v_and_b32_e32 v0, 15, v0
	v_cndmask_b32_e64 v1, 0, 1, vcc
	v_lshl_or_b32 v0, v1, 4, v0
	v_cvt_f32_ubyte0_e32 v1, v8
	v_mul_f32_e32 v1, v3, v1
	v_cvt_f32_ubyte0_e32 v3, v7
	v_cvt_f32_ubyte0_e32 v0, v0
	v_mul_f32_e32 v3, v4, v3
	v_fma_f32 v0, v1, v0, -v3
.LBB36_29:                              ;   in Loop: Header=BB36_3 Depth=1
	s_or_b64 exec, exec, s[36:37]
	ds_write_b32 v96, v0
	v_mov_b32_e32 v0, 0
	s_and_saveexec_b64 s[48:49], s[2:3]
	s_cbranch_execz .LBB36_55
; %bb.30:                               ;   in Loop: Header=BB36_3 Depth=1
	v_mov_b32_e32 v1, s65
	v_add_co_u32_e32 v0, vcc, s64, v54
	v_addc_co_u32_e32 v1, vcc, v1, v55, vcc
	global_load_ushort v3, v[0:1], off
	s_waitcnt vmcnt(0)
	v_lshrrev_b16_e32 v6, 8, v3
	v_perm_b32 v4, v6, v3, s41
	v_lshrrev_b32_e32 v5, 7, v6
	v_bfe_u32 v6, v6, 2, 5
	v_cmp_lt_i32_e32 vcc, 30, v6
	v_lshlrev_b32_e32 v3, 31, v5
	s_and_saveexec_b64 s[36:37], vcc
	s_xor_b64 s[36:37], exec, s[36:37]
; %bb.31:                               ;   in Loop: Header=BB36_3 Depth=1
	v_lshlrev_b32_e32 v3, 31, v5
	v_lshlrev_b32_e32 v4, 13, v4
	v_or3_b32 v3, v4, v3, s58
                                        ; implicit-def: $vgpr4
                                        ; implicit-def: $vgpr6
                                        ; implicit-def: $vgpr5
; %bb.32:                               ;   in Loop: Header=BB36_3 Depth=1
	s_andn2_saveexec_b64 s[36:37], s[36:37]
	s_cbranch_execz .LBB36_40
; %bb.33:                               ;   in Loop: Header=BB36_3 Depth=1
	v_and_b32_e32 v7, 0x3ff, v4
	v_cmp_ne_u32_e32 vcc, 0, v6
	s_and_saveexec_b64 s[50:51], vcc
	s_xor_b64 s[50:51], exec, s[50:51]
; %bb.34:                               ;   in Loop: Header=BB36_3 Depth=1
	v_lshlrev_b32_e32 v3, 31, v5
	v_lshlrev_b32_e32 v4, 23, v6
	;; [unrolled: 1-line block ×3, first 2 shown]
	v_or3_b32 v3, v4, v3, v5
	v_add_u32_e32 v3, 0x38000000, v3
                                        ; implicit-def: $vgpr7
                                        ; implicit-def: $vgpr4
                                        ; implicit-def: $vgpr5
; %bb.35:                               ;   in Loop: Header=BB36_3 Depth=1
	s_andn2_saveexec_b64 s[50:51], s[50:51]
	s_cbranch_execz .LBB36_39
; %bb.36:                               ;   in Loop: Header=BB36_3 Depth=1
	v_cmp_ne_u32_e32 vcc, 0, v7
	s_and_saveexec_b64 s[52:53], vcc
	s_xor_b64 s[52:53], exec, s[52:53]
; %bb.37:                               ;   in Loop: Header=BB36_3 Depth=1
	v_ffbh_u32_e32 v3, v7
	v_xor_b32_e32 v6, 31, v3
	v_sub_u32_e32 v6, 9, v6
	v_lshlrev_b32_e32 v4, v6, v4
	v_lshlrev_b32_e32 v5, 31, v5
	;; [unrolled: 1-line block ×4, first 2 shown]
	v_and_or_b32 v4, v4, s59, v5
	v_sub_u32_e32 v3, v4, v3
	v_add_u32_e32 v3, 0x43000000, v3
; %bb.38:                               ;   in Loop: Header=BB36_3 Depth=1
	s_andn2_saveexec_b64 s[52:53], s[52:53]
	s_or_b64 exec, exec, s[52:53]
.LBB36_39:                              ;   in Loop: Header=BB36_3 Depth=1
	s_or_b64 exec, exec, s[50:51]
.LBB36_40:                              ;   in Loop: Header=BB36_3 Depth=1
	s_or_b64 exec, exec, s[36:37]
	global_load_ushort v4, v[0:1], off offset:2
	s_waitcnt vmcnt(0)
	v_lshrrev_b16_e32 v7, 8, v4
	v_perm_b32 v5, v7, v4, s41
	v_lshrrev_b32_e32 v6, 7, v7
	v_bfe_u32 v7, v7, 2, 5
	v_cmp_lt_i32_e32 vcc, 30, v7
	v_lshlrev_b32_e32 v4, 31, v6
	s_and_saveexec_b64 s[36:37], vcc
	s_xor_b64 s[36:37], exec, s[36:37]
; %bb.41:                               ;   in Loop: Header=BB36_3 Depth=1
	v_lshlrev_b32_e32 v4, 31, v6
	v_lshlrev_b32_e32 v5, 13, v5
	v_or3_b32 v4, v5, v4, s58
                                        ; implicit-def: $vgpr5
                                        ; implicit-def: $vgpr7
                                        ; implicit-def: $vgpr6
; %bb.42:                               ;   in Loop: Header=BB36_3 Depth=1
	s_andn2_saveexec_b64 s[36:37], s[36:37]
	s_cbranch_execz .LBB36_50
; %bb.43:                               ;   in Loop: Header=BB36_3 Depth=1
	v_and_b32_e32 v8, 0x3ff, v5
	v_cmp_ne_u32_e32 vcc, 0, v7
	s_and_saveexec_b64 s[50:51], vcc
	s_xor_b64 s[50:51], exec, s[50:51]
; %bb.44:                               ;   in Loop: Header=BB36_3 Depth=1
	v_lshlrev_b32_e32 v4, 31, v6
	v_lshlrev_b32_e32 v5, 23, v7
	;; [unrolled: 1-line block ×3, first 2 shown]
	v_or3_b32 v4, v5, v4, v6
	v_add_u32_e32 v4, 0x38000000, v4
                                        ; implicit-def: $vgpr8
                                        ; implicit-def: $vgpr5
                                        ; implicit-def: $vgpr6
; %bb.45:                               ;   in Loop: Header=BB36_3 Depth=1
	s_andn2_saveexec_b64 s[50:51], s[50:51]
	s_cbranch_execz .LBB36_49
; %bb.46:                               ;   in Loop: Header=BB36_3 Depth=1
	v_cmp_ne_u32_e32 vcc, 0, v8
	s_and_saveexec_b64 s[52:53], vcc
	s_xor_b64 s[52:53], exec, s[52:53]
; %bb.47:                               ;   in Loop: Header=BB36_3 Depth=1
	v_ffbh_u32_e32 v4, v8
	v_xor_b32_e32 v7, 31, v4
	v_sub_u32_e32 v7, 9, v7
	v_lshlrev_b32_e32 v5, v7, v5
	v_lshlrev_b32_e32 v6, 31, v6
	;; [unrolled: 1-line block ×4, first 2 shown]
	v_and_or_b32 v5, v5, s59, v6
	v_sub_u32_e32 v4, v5, v4
	v_add_u32_e32 v4, 0x43000000, v4
; %bb.48:                               ;   in Loop: Header=BB36_3 Depth=1
	s_andn2_saveexec_b64 s[52:53], s[52:53]
	s_or_b64 exec, exec, s[52:53]
.LBB36_49:                              ;   in Loop: Header=BB36_3 Depth=1
	s_or_b64 exec, exec, s[50:51]
.LBB36_50:                              ;   in Loop: Header=BB36_3 Depth=1
	s_or_b64 exec, exec, s[36:37]
	v_add_co_u32_e32 v6, vcc, v0, v2
	v_addc_co_u32_e32 v7, vcc, 0, v1, vcc
	v_add_co_u32_e32 v8, vcc, v0, v32
	v_addc_co_u32_e32 v9, vcc, 0, v1, vcc
	global_load_ubyte v5, v[6:7], off offset:48
	s_nop 0
	global_load_ubyte v6, v[8:9], off offset:16
	v_add_co_u32_e64 v0, s[36:37], s63, v0
	s_andn2_b64 vcc, exec, s[38:39]
	v_addc_co_u32_e64 v1, s[36:37], 0, v1, s[36:37]
	s_cbranch_vccnz .LBB36_52
; %bb.51:                               ;   in Loop: Header=BB36_3 Depth=1
	global_load_ubyte v7, v[0:1], off offset:8
	global_load_ubyte v8, v[0:1], off
	global_load_ubyte v9, v[0:1], off offset:4
	s_waitcnt vmcnt(2)
	v_and_b32_e32 v10, 15, v7
	s_waitcnt vmcnt(1)
	v_lshrrev_b16_e32 v8, 2, v8
	s_waitcnt vmcnt(0)
	v_lshrrev_b16_e32 v9, 2, v9
	v_lshrrev_b16_e32 v7, 4, v7
	v_and_b32_e32 v8, 48, v8
	v_and_b32_e32 v9, 48, v9
	v_or_b32_e32 v8, v8, v10
	v_or_b32_e32 v7, v9, v7
	s_cbranch_execz .LBB36_53
	s_branch .LBB36_54
.LBB36_52:                              ;   in Loop: Header=BB36_3 Depth=1
                                        ; implicit-def: $vgpr7
                                        ; implicit-def: $vgpr8
.LBB36_53:                              ;   in Loop: Header=BB36_3 Depth=1
	global_load_ubyte v7, v[0:1], off offset:4
	s_nop 0
	global_load_ubyte v0, v[0:1], off offset:8
	s_waitcnt vmcnt(1)
	v_and_b32_e32 v8, 63, v7
	s_waitcnt vmcnt(0)
	v_and_b32_e32 v7, 63, v0
.LBB36_54:                              ;   in Loop: Header=BB36_3 Depth=1
	s_waitcnt vmcnt(1)
	v_lshrrev_b32_e32 v0, 4, v5
	s_waitcnt vmcnt(0)
	v_and_b32_e32 v1, s62, v6
	v_cndmask_b32_e64 v0, v0, v5, s[34:35]
	v_cmp_ne_u32_e32 vcc, 0, v1
	v_and_b32_e32 v0, 15, v0
	v_cndmask_b32_e64 v1, 0, 1, vcc
	v_lshl_or_b32 v0, v1, 4, v0
	v_cvt_f32_ubyte0_e32 v1, v8
	v_mul_f32_e32 v1, v3, v1
	v_cvt_f32_ubyte0_e32 v3, v7
	v_cvt_f32_ubyte0_e32 v0, v0
	v_mul_f32_e32 v3, v4, v3
	v_fma_f32 v0, v1, v0, -v3
.LBB36_55:                              ;   in Loop: Header=BB36_3 Depth=1
	s_or_b64 exec, exec, s[48:49]
	ds_write_b32 v97, v0
	v_mov_b32_e32 v0, 0
	s_and_saveexec_b64 s[48:49], s[4:5]
	s_cbranch_execz .LBB36_81
; %bb.56:                               ;   in Loop: Header=BB36_3 Depth=1
	v_mov_b32_e32 v1, s65
	v_add_co_u32_e32 v0, vcc, s64, v56
	v_addc_co_u32_e32 v1, vcc, v1, v57, vcc
	global_load_ushort v3, v[0:1], off
	s_waitcnt vmcnt(0)
	v_lshrrev_b16_e32 v6, 8, v3
	v_perm_b32 v4, v6, v3, s41
	v_lshrrev_b32_e32 v5, 7, v6
	v_bfe_u32 v6, v6, 2, 5
	v_cmp_lt_i32_e32 vcc, 30, v6
	v_lshlrev_b32_e32 v3, 31, v5
	s_and_saveexec_b64 s[36:37], vcc
	s_xor_b64 s[36:37], exec, s[36:37]
; %bb.57:                               ;   in Loop: Header=BB36_3 Depth=1
	v_lshlrev_b32_e32 v3, 31, v5
	v_lshlrev_b32_e32 v4, 13, v4
	v_or3_b32 v3, v4, v3, s58
                                        ; implicit-def: $vgpr4
                                        ; implicit-def: $vgpr6
                                        ; implicit-def: $vgpr5
; %bb.58:                               ;   in Loop: Header=BB36_3 Depth=1
	s_andn2_saveexec_b64 s[36:37], s[36:37]
	s_cbranch_execz .LBB36_66
; %bb.59:                               ;   in Loop: Header=BB36_3 Depth=1
	v_and_b32_e32 v7, 0x3ff, v4
	v_cmp_ne_u32_e32 vcc, 0, v6
	s_and_saveexec_b64 s[50:51], vcc
	s_xor_b64 s[50:51], exec, s[50:51]
; %bb.60:                               ;   in Loop: Header=BB36_3 Depth=1
	v_lshlrev_b32_e32 v3, 31, v5
	v_lshlrev_b32_e32 v4, 23, v6
	;; [unrolled: 1-line block ×3, first 2 shown]
	v_or3_b32 v3, v4, v3, v5
	v_add_u32_e32 v3, 0x38000000, v3
                                        ; implicit-def: $vgpr7
                                        ; implicit-def: $vgpr4
                                        ; implicit-def: $vgpr5
; %bb.61:                               ;   in Loop: Header=BB36_3 Depth=1
	s_andn2_saveexec_b64 s[50:51], s[50:51]
	s_cbranch_execz .LBB36_65
; %bb.62:                               ;   in Loop: Header=BB36_3 Depth=1
	v_cmp_ne_u32_e32 vcc, 0, v7
	s_and_saveexec_b64 s[52:53], vcc
	s_xor_b64 s[52:53], exec, s[52:53]
; %bb.63:                               ;   in Loop: Header=BB36_3 Depth=1
	v_ffbh_u32_e32 v3, v7
	v_xor_b32_e32 v6, 31, v3
	v_sub_u32_e32 v6, 9, v6
	v_lshlrev_b32_e32 v4, v6, v4
	v_lshlrev_b32_e32 v5, 31, v5
	;; [unrolled: 1-line block ×4, first 2 shown]
	v_and_or_b32 v4, v4, s59, v5
	v_sub_u32_e32 v3, v4, v3
	v_add_u32_e32 v3, 0x43000000, v3
; %bb.64:                               ;   in Loop: Header=BB36_3 Depth=1
	s_andn2_saveexec_b64 s[52:53], s[52:53]
	s_or_b64 exec, exec, s[52:53]
.LBB36_65:                              ;   in Loop: Header=BB36_3 Depth=1
	s_or_b64 exec, exec, s[50:51]
.LBB36_66:                              ;   in Loop: Header=BB36_3 Depth=1
	s_or_b64 exec, exec, s[36:37]
	global_load_ushort v4, v[0:1], off offset:2
	s_waitcnt vmcnt(0)
	v_lshrrev_b16_e32 v7, 8, v4
	v_perm_b32 v5, v7, v4, s41
	v_lshrrev_b32_e32 v6, 7, v7
	v_bfe_u32 v7, v7, 2, 5
	v_cmp_lt_i32_e32 vcc, 30, v7
	v_lshlrev_b32_e32 v4, 31, v6
	s_and_saveexec_b64 s[36:37], vcc
	s_xor_b64 s[36:37], exec, s[36:37]
; %bb.67:                               ;   in Loop: Header=BB36_3 Depth=1
	v_lshlrev_b32_e32 v4, 31, v6
	v_lshlrev_b32_e32 v5, 13, v5
	v_or3_b32 v4, v5, v4, s58
                                        ; implicit-def: $vgpr5
                                        ; implicit-def: $vgpr7
                                        ; implicit-def: $vgpr6
; %bb.68:                               ;   in Loop: Header=BB36_3 Depth=1
	s_andn2_saveexec_b64 s[36:37], s[36:37]
	s_cbranch_execz .LBB36_76
; %bb.69:                               ;   in Loop: Header=BB36_3 Depth=1
	v_and_b32_e32 v8, 0x3ff, v5
	v_cmp_ne_u32_e32 vcc, 0, v7
	s_and_saveexec_b64 s[50:51], vcc
	s_xor_b64 s[50:51], exec, s[50:51]
; %bb.70:                               ;   in Loop: Header=BB36_3 Depth=1
	v_lshlrev_b32_e32 v4, 31, v6
	v_lshlrev_b32_e32 v5, 23, v7
	;; [unrolled: 1-line block ×3, first 2 shown]
	v_or3_b32 v4, v5, v4, v6
	v_add_u32_e32 v4, 0x38000000, v4
                                        ; implicit-def: $vgpr8
                                        ; implicit-def: $vgpr5
                                        ; implicit-def: $vgpr6
; %bb.71:                               ;   in Loop: Header=BB36_3 Depth=1
	s_andn2_saveexec_b64 s[50:51], s[50:51]
	s_cbranch_execz .LBB36_75
; %bb.72:                               ;   in Loop: Header=BB36_3 Depth=1
	v_cmp_ne_u32_e32 vcc, 0, v8
	s_and_saveexec_b64 s[52:53], vcc
	s_xor_b64 s[52:53], exec, s[52:53]
; %bb.73:                               ;   in Loop: Header=BB36_3 Depth=1
	v_ffbh_u32_e32 v4, v8
	v_xor_b32_e32 v7, 31, v4
	v_sub_u32_e32 v7, 9, v7
	v_lshlrev_b32_e32 v5, v7, v5
	v_lshlrev_b32_e32 v6, 31, v6
	;; [unrolled: 1-line block ×4, first 2 shown]
	v_and_or_b32 v5, v5, s59, v6
	v_sub_u32_e32 v4, v5, v4
	v_add_u32_e32 v4, 0x43000000, v4
; %bb.74:                               ;   in Loop: Header=BB36_3 Depth=1
	s_andn2_saveexec_b64 s[52:53], s[52:53]
	s_or_b64 exec, exec, s[52:53]
.LBB36_75:                              ;   in Loop: Header=BB36_3 Depth=1
	s_or_b64 exec, exec, s[50:51]
.LBB36_76:                              ;   in Loop: Header=BB36_3 Depth=1
	s_or_b64 exec, exec, s[36:37]
	v_add_co_u32_e32 v6, vcc, v0, v2
	v_addc_co_u32_e32 v7, vcc, 0, v1, vcc
	v_add_co_u32_e32 v8, vcc, v0, v32
	v_addc_co_u32_e32 v9, vcc, 0, v1, vcc
	global_load_ubyte v5, v[6:7], off offset:48
	s_nop 0
	global_load_ubyte v6, v[8:9], off offset:16
	v_add_co_u32_e64 v0, s[36:37], s63, v0
	s_andn2_b64 vcc, exec, s[38:39]
	v_addc_co_u32_e64 v1, s[36:37], 0, v1, s[36:37]
	s_cbranch_vccnz .LBB36_78
; %bb.77:                               ;   in Loop: Header=BB36_3 Depth=1
	global_load_ubyte v7, v[0:1], off offset:8
	global_load_ubyte v8, v[0:1], off
	global_load_ubyte v9, v[0:1], off offset:4
	s_waitcnt vmcnt(2)
	v_and_b32_e32 v10, 15, v7
	s_waitcnt vmcnt(1)
	v_lshrrev_b16_e32 v8, 2, v8
	s_waitcnt vmcnt(0)
	v_lshrrev_b16_e32 v9, 2, v9
	v_lshrrev_b16_e32 v7, 4, v7
	v_and_b32_e32 v8, 48, v8
	v_and_b32_e32 v9, 48, v9
	v_or_b32_e32 v8, v8, v10
	v_or_b32_e32 v7, v9, v7
	s_cbranch_execz .LBB36_79
	s_branch .LBB36_80
.LBB36_78:                              ;   in Loop: Header=BB36_3 Depth=1
                                        ; implicit-def: $vgpr7
                                        ; implicit-def: $vgpr8
.LBB36_79:                              ;   in Loop: Header=BB36_3 Depth=1
	global_load_ubyte v7, v[0:1], off offset:4
	s_nop 0
	global_load_ubyte v0, v[0:1], off offset:8
	s_waitcnt vmcnt(1)
	v_and_b32_e32 v8, 63, v7
	s_waitcnt vmcnt(0)
	v_and_b32_e32 v7, 63, v0
.LBB36_80:                              ;   in Loop: Header=BB36_3 Depth=1
	s_waitcnt vmcnt(1)
	v_lshrrev_b32_e32 v0, 4, v5
	s_waitcnt vmcnt(0)
	v_and_b32_e32 v1, s62, v6
	v_cndmask_b32_e64 v0, v0, v5, s[34:35]
	v_cmp_ne_u32_e32 vcc, 0, v1
	v_and_b32_e32 v0, 15, v0
	v_cndmask_b32_e64 v1, 0, 1, vcc
	v_lshl_or_b32 v0, v1, 4, v0
	v_cvt_f32_ubyte0_e32 v1, v8
	v_mul_f32_e32 v1, v3, v1
	v_cvt_f32_ubyte0_e32 v3, v7
	v_cvt_f32_ubyte0_e32 v0, v0
	v_mul_f32_e32 v3, v4, v3
	v_fma_f32 v0, v1, v0, -v3
.LBB36_81:                              ;   in Loop: Header=BB36_3 Depth=1
	s_or_b64 exec, exec, s[48:49]
	ds_write_b32 v98, v0
	v_mov_b32_e32 v0, 0
	s_and_saveexec_b64 s[48:49], s[6:7]
	s_cbranch_execz .LBB36_107
; %bb.82:                               ;   in Loop: Header=BB36_3 Depth=1
	v_mov_b32_e32 v1, s65
	v_add_co_u32_e32 v0, vcc, s64, v58
	v_addc_co_u32_e32 v1, vcc, v1, v59, vcc
	global_load_ushort v3, v[0:1], off
	s_waitcnt vmcnt(0)
	v_lshrrev_b16_e32 v6, 8, v3
	v_perm_b32 v4, v6, v3, s41
	v_lshrrev_b32_e32 v5, 7, v6
	v_bfe_u32 v6, v6, 2, 5
	v_cmp_lt_i32_e32 vcc, 30, v6
	v_lshlrev_b32_e32 v3, 31, v5
	s_and_saveexec_b64 s[36:37], vcc
	s_xor_b64 s[36:37], exec, s[36:37]
; %bb.83:                               ;   in Loop: Header=BB36_3 Depth=1
	v_lshlrev_b32_e32 v3, 31, v5
	v_lshlrev_b32_e32 v4, 13, v4
	v_or3_b32 v3, v4, v3, s58
                                        ; implicit-def: $vgpr4
                                        ; implicit-def: $vgpr6
                                        ; implicit-def: $vgpr5
; %bb.84:                               ;   in Loop: Header=BB36_3 Depth=1
	s_andn2_saveexec_b64 s[36:37], s[36:37]
	s_cbranch_execz .LBB36_92
; %bb.85:                               ;   in Loop: Header=BB36_3 Depth=1
	v_and_b32_e32 v7, 0x3ff, v4
	v_cmp_ne_u32_e32 vcc, 0, v6
	s_and_saveexec_b64 s[50:51], vcc
	s_xor_b64 s[50:51], exec, s[50:51]
; %bb.86:                               ;   in Loop: Header=BB36_3 Depth=1
	v_lshlrev_b32_e32 v3, 31, v5
	v_lshlrev_b32_e32 v4, 23, v6
	;; [unrolled: 1-line block ×3, first 2 shown]
	v_or3_b32 v3, v4, v3, v5
	v_add_u32_e32 v3, 0x38000000, v3
                                        ; implicit-def: $vgpr7
                                        ; implicit-def: $vgpr4
                                        ; implicit-def: $vgpr5
; %bb.87:                               ;   in Loop: Header=BB36_3 Depth=1
	s_andn2_saveexec_b64 s[50:51], s[50:51]
	s_cbranch_execz .LBB36_91
; %bb.88:                               ;   in Loop: Header=BB36_3 Depth=1
	v_cmp_ne_u32_e32 vcc, 0, v7
	s_and_saveexec_b64 s[52:53], vcc
	s_xor_b64 s[52:53], exec, s[52:53]
; %bb.89:                               ;   in Loop: Header=BB36_3 Depth=1
	v_ffbh_u32_e32 v3, v7
	v_xor_b32_e32 v6, 31, v3
	v_sub_u32_e32 v6, 9, v6
	v_lshlrev_b32_e32 v4, v6, v4
	v_lshlrev_b32_e32 v5, 31, v5
	;; [unrolled: 1-line block ×4, first 2 shown]
	v_and_or_b32 v4, v4, s59, v5
	v_sub_u32_e32 v3, v4, v3
	v_add_u32_e32 v3, 0x43000000, v3
; %bb.90:                               ;   in Loop: Header=BB36_3 Depth=1
	s_andn2_saveexec_b64 s[52:53], s[52:53]
	s_or_b64 exec, exec, s[52:53]
.LBB36_91:                              ;   in Loop: Header=BB36_3 Depth=1
	s_or_b64 exec, exec, s[50:51]
.LBB36_92:                              ;   in Loop: Header=BB36_3 Depth=1
	s_or_b64 exec, exec, s[36:37]
	global_load_ushort v4, v[0:1], off offset:2
	s_waitcnt vmcnt(0)
	v_lshrrev_b16_e32 v7, 8, v4
	v_perm_b32 v5, v7, v4, s41
	v_lshrrev_b32_e32 v6, 7, v7
	v_bfe_u32 v7, v7, 2, 5
	v_cmp_lt_i32_e32 vcc, 30, v7
	v_lshlrev_b32_e32 v4, 31, v6
	s_and_saveexec_b64 s[36:37], vcc
	s_xor_b64 s[36:37], exec, s[36:37]
; %bb.93:                               ;   in Loop: Header=BB36_3 Depth=1
	v_lshlrev_b32_e32 v4, 31, v6
	v_lshlrev_b32_e32 v5, 13, v5
	v_or3_b32 v4, v5, v4, s58
                                        ; implicit-def: $vgpr5
                                        ; implicit-def: $vgpr7
                                        ; implicit-def: $vgpr6
; %bb.94:                               ;   in Loop: Header=BB36_3 Depth=1
	s_andn2_saveexec_b64 s[36:37], s[36:37]
	s_cbranch_execz .LBB36_102
; %bb.95:                               ;   in Loop: Header=BB36_3 Depth=1
	v_and_b32_e32 v8, 0x3ff, v5
	v_cmp_ne_u32_e32 vcc, 0, v7
	s_and_saveexec_b64 s[50:51], vcc
	s_xor_b64 s[50:51], exec, s[50:51]
; %bb.96:                               ;   in Loop: Header=BB36_3 Depth=1
	v_lshlrev_b32_e32 v4, 31, v6
	v_lshlrev_b32_e32 v5, 23, v7
	;; [unrolled: 1-line block ×3, first 2 shown]
	v_or3_b32 v4, v5, v4, v6
	v_add_u32_e32 v4, 0x38000000, v4
                                        ; implicit-def: $vgpr8
                                        ; implicit-def: $vgpr5
                                        ; implicit-def: $vgpr6
; %bb.97:                               ;   in Loop: Header=BB36_3 Depth=1
	s_andn2_saveexec_b64 s[50:51], s[50:51]
	s_cbranch_execz .LBB36_101
; %bb.98:                               ;   in Loop: Header=BB36_3 Depth=1
	v_cmp_ne_u32_e32 vcc, 0, v8
	s_and_saveexec_b64 s[52:53], vcc
	s_xor_b64 s[52:53], exec, s[52:53]
; %bb.99:                               ;   in Loop: Header=BB36_3 Depth=1
	v_ffbh_u32_e32 v4, v8
	v_xor_b32_e32 v7, 31, v4
	v_sub_u32_e32 v7, 9, v7
	v_lshlrev_b32_e32 v5, v7, v5
	v_lshlrev_b32_e32 v6, 31, v6
	;; [unrolled: 1-line block ×4, first 2 shown]
	v_and_or_b32 v5, v5, s59, v6
	v_sub_u32_e32 v4, v5, v4
	v_add_u32_e32 v4, 0x43000000, v4
; %bb.100:                              ;   in Loop: Header=BB36_3 Depth=1
	s_andn2_saveexec_b64 s[52:53], s[52:53]
	s_or_b64 exec, exec, s[52:53]
.LBB36_101:                             ;   in Loop: Header=BB36_3 Depth=1
	s_or_b64 exec, exec, s[50:51]
.LBB36_102:                             ;   in Loop: Header=BB36_3 Depth=1
	s_or_b64 exec, exec, s[36:37]
	v_add_co_u32_e32 v6, vcc, v0, v2
	v_addc_co_u32_e32 v7, vcc, 0, v1, vcc
	v_add_co_u32_e32 v8, vcc, v0, v32
	v_addc_co_u32_e32 v9, vcc, 0, v1, vcc
	global_load_ubyte v5, v[6:7], off offset:48
	s_nop 0
	global_load_ubyte v6, v[8:9], off offset:16
	v_add_co_u32_e64 v0, s[36:37], s63, v0
	s_andn2_b64 vcc, exec, s[38:39]
	v_addc_co_u32_e64 v1, s[36:37], 0, v1, s[36:37]
	s_cbranch_vccnz .LBB36_104
; %bb.103:                              ;   in Loop: Header=BB36_3 Depth=1
	global_load_ubyte v7, v[0:1], off offset:8
	global_load_ubyte v8, v[0:1], off
	global_load_ubyte v9, v[0:1], off offset:4
	s_waitcnt vmcnt(2)
	v_and_b32_e32 v10, 15, v7
	s_waitcnt vmcnt(1)
	v_lshrrev_b16_e32 v8, 2, v8
	s_waitcnt vmcnt(0)
	v_lshrrev_b16_e32 v9, 2, v9
	v_lshrrev_b16_e32 v7, 4, v7
	v_and_b32_e32 v8, 48, v8
	v_and_b32_e32 v9, 48, v9
	v_or_b32_e32 v8, v8, v10
	v_or_b32_e32 v7, v9, v7
	s_cbranch_execz .LBB36_105
	s_branch .LBB36_106
.LBB36_104:                             ;   in Loop: Header=BB36_3 Depth=1
                                        ; implicit-def: $vgpr7
                                        ; implicit-def: $vgpr8
.LBB36_105:                             ;   in Loop: Header=BB36_3 Depth=1
	global_load_ubyte v7, v[0:1], off offset:4
	s_nop 0
	global_load_ubyte v0, v[0:1], off offset:8
	s_waitcnt vmcnt(1)
	v_and_b32_e32 v8, 63, v7
	s_waitcnt vmcnt(0)
	v_and_b32_e32 v7, 63, v0
.LBB36_106:                             ;   in Loop: Header=BB36_3 Depth=1
	s_waitcnt vmcnt(1)
	v_lshrrev_b32_e32 v0, 4, v5
	s_waitcnt vmcnt(0)
	v_and_b32_e32 v1, s62, v6
	v_cndmask_b32_e64 v0, v0, v5, s[34:35]
	v_cmp_ne_u32_e32 vcc, 0, v1
	v_and_b32_e32 v0, 15, v0
	v_cndmask_b32_e64 v1, 0, 1, vcc
	v_lshl_or_b32 v0, v1, 4, v0
	v_cvt_f32_ubyte0_e32 v1, v8
	v_mul_f32_e32 v1, v3, v1
	v_cvt_f32_ubyte0_e32 v3, v7
	v_cvt_f32_ubyte0_e32 v0, v0
	v_mul_f32_e32 v3, v4, v3
	v_fma_f32 v0, v1, v0, -v3
.LBB36_107:                             ;   in Loop: Header=BB36_3 Depth=1
	s_or_b64 exec, exec, s[48:49]
	ds_write_b32 v99, v0
	v_mov_b32_e32 v0, 0
	s_and_saveexec_b64 s[48:49], s[8:9]
	s_cbranch_execz .LBB36_133
; %bb.108:                              ;   in Loop: Header=BB36_3 Depth=1
	v_mov_b32_e32 v1, s65
	v_add_co_u32_e32 v0, vcc, s64, v60
	v_addc_co_u32_e32 v1, vcc, v1, v61, vcc
	global_load_ushort v3, v[0:1], off
	s_waitcnt vmcnt(0)
	v_lshrrev_b16_e32 v6, 8, v3
	v_perm_b32 v4, v6, v3, s41
	v_lshrrev_b32_e32 v5, 7, v6
	v_bfe_u32 v6, v6, 2, 5
	v_cmp_lt_i32_e32 vcc, 30, v6
	v_lshlrev_b32_e32 v3, 31, v5
	s_and_saveexec_b64 s[36:37], vcc
	s_xor_b64 s[36:37], exec, s[36:37]
; %bb.109:                              ;   in Loop: Header=BB36_3 Depth=1
	v_lshlrev_b32_e32 v3, 31, v5
	v_lshlrev_b32_e32 v4, 13, v4
	v_or3_b32 v3, v4, v3, s58
                                        ; implicit-def: $vgpr4
                                        ; implicit-def: $vgpr6
                                        ; implicit-def: $vgpr5
; %bb.110:                              ;   in Loop: Header=BB36_3 Depth=1
	s_andn2_saveexec_b64 s[36:37], s[36:37]
	s_cbranch_execz .LBB36_118
; %bb.111:                              ;   in Loop: Header=BB36_3 Depth=1
	v_and_b32_e32 v7, 0x3ff, v4
	v_cmp_ne_u32_e32 vcc, 0, v6
	s_and_saveexec_b64 s[50:51], vcc
	s_xor_b64 s[50:51], exec, s[50:51]
; %bb.112:                              ;   in Loop: Header=BB36_3 Depth=1
	v_lshlrev_b32_e32 v3, 31, v5
	v_lshlrev_b32_e32 v4, 23, v6
	;; [unrolled: 1-line block ×3, first 2 shown]
	v_or3_b32 v3, v4, v3, v5
	v_add_u32_e32 v3, 0x38000000, v3
                                        ; implicit-def: $vgpr7
                                        ; implicit-def: $vgpr4
                                        ; implicit-def: $vgpr5
; %bb.113:                              ;   in Loop: Header=BB36_3 Depth=1
	s_andn2_saveexec_b64 s[50:51], s[50:51]
	s_cbranch_execz .LBB36_117
; %bb.114:                              ;   in Loop: Header=BB36_3 Depth=1
	v_cmp_ne_u32_e32 vcc, 0, v7
	s_and_saveexec_b64 s[52:53], vcc
	s_xor_b64 s[52:53], exec, s[52:53]
; %bb.115:                              ;   in Loop: Header=BB36_3 Depth=1
	v_ffbh_u32_e32 v3, v7
	v_xor_b32_e32 v6, 31, v3
	v_sub_u32_e32 v6, 9, v6
	v_lshlrev_b32_e32 v4, v6, v4
	v_lshlrev_b32_e32 v5, 31, v5
	;; [unrolled: 1-line block ×4, first 2 shown]
	v_and_or_b32 v4, v4, s59, v5
	v_sub_u32_e32 v3, v4, v3
	v_add_u32_e32 v3, 0x43000000, v3
; %bb.116:                              ;   in Loop: Header=BB36_3 Depth=1
	s_andn2_saveexec_b64 s[52:53], s[52:53]
	s_or_b64 exec, exec, s[52:53]
.LBB36_117:                             ;   in Loop: Header=BB36_3 Depth=1
	s_or_b64 exec, exec, s[50:51]
.LBB36_118:                             ;   in Loop: Header=BB36_3 Depth=1
	s_or_b64 exec, exec, s[36:37]
	global_load_ushort v4, v[0:1], off offset:2
	s_waitcnt vmcnt(0)
	v_lshrrev_b16_e32 v7, 8, v4
	v_perm_b32 v5, v7, v4, s41
	v_lshrrev_b32_e32 v6, 7, v7
	v_bfe_u32 v7, v7, 2, 5
	v_cmp_lt_i32_e32 vcc, 30, v7
	v_lshlrev_b32_e32 v4, 31, v6
	s_and_saveexec_b64 s[36:37], vcc
	s_xor_b64 s[36:37], exec, s[36:37]
; %bb.119:                              ;   in Loop: Header=BB36_3 Depth=1
	v_lshlrev_b32_e32 v4, 31, v6
	v_lshlrev_b32_e32 v5, 13, v5
	v_or3_b32 v4, v5, v4, s58
                                        ; implicit-def: $vgpr5
                                        ; implicit-def: $vgpr7
                                        ; implicit-def: $vgpr6
; %bb.120:                              ;   in Loop: Header=BB36_3 Depth=1
	s_andn2_saveexec_b64 s[36:37], s[36:37]
	s_cbranch_execz .LBB36_128
; %bb.121:                              ;   in Loop: Header=BB36_3 Depth=1
	v_and_b32_e32 v8, 0x3ff, v5
	v_cmp_ne_u32_e32 vcc, 0, v7
	s_and_saveexec_b64 s[50:51], vcc
	s_xor_b64 s[50:51], exec, s[50:51]
; %bb.122:                              ;   in Loop: Header=BB36_3 Depth=1
	v_lshlrev_b32_e32 v4, 31, v6
	v_lshlrev_b32_e32 v5, 23, v7
	;; [unrolled: 1-line block ×3, first 2 shown]
	v_or3_b32 v4, v5, v4, v6
	v_add_u32_e32 v4, 0x38000000, v4
                                        ; implicit-def: $vgpr8
                                        ; implicit-def: $vgpr5
                                        ; implicit-def: $vgpr6
; %bb.123:                              ;   in Loop: Header=BB36_3 Depth=1
	s_andn2_saveexec_b64 s[50:51], s[50:51]
	s_cbranch_execz .LBB36_127
; %bb.124:                              ;   in Loop: Header=BB36_3 Depth=1
	v_cmp_ne_u32_e32 vcc, 0, v8
	s_and_saveexec_b64 s[52:53], vcc
	s_xor_b64 s[52:53], exec, s[52:53]
; %bb.125:                              ;   in Loop: Header=BB36_3 Depth=1
	v_ffbh_u32_e32 v4, v8
	v_xor_b32_e32 v7, 31, v4
	v_sub_u32_e32 v7, 9, v7
	v_lshlrev_b32_e32 v5, v7, v5
	v_lshlrev_b32_e32 v6, 31, v6
	;; [unrolled: 1-line block ×4, first 2 shown]
	v_and_or_b32 v5, v5, s59, v6
	v_sub_u32_e32 v4, v5, v4
	v_add_u32_e32 v4, 0x43000000, v4
; %bb.126:                              ;   in Loop: Header=BB36_3 Depth=1
	s_andn2_saveexec_b64 s[52:53], s[52:53]
	s_or_b64 exec, exec, s[52:53]
.LBB36_127:                             ;   in Loop: Header=BB36_3 Depth=1
	s_or_b64 exec, exec, s[50:51]
.LBB36_128:                             ;   in Loop: Header=BB36_3 Depth=1
	s_or_b64 exec, exec, s[36:37]
	v_add_co_u32_e32 v6, vcc, v0, v2
	v_addc_co_u32_e32 v7, vcc, 0, v1, vcc
	v_add_co_u32_e32 v8, vcc, v0, v32
	v_addc_co_u32_e32 v9, vcc, 0, v1, vcc
	global_load_ubyte v5, v[6:7], off offset:48
	s_nop 0
	global_load_ubyte v6, v[8:9], off offset:16
	v_add_co_u32_e64 v0, s[36:37], s63, v0
	s_andn2_b64 vcc, exec, s[38:39]
	v_addc_co_u32_e64 v1, s[36:37], 0, v1, s[36:37]
	s_cbranch_vccnz .LBB36_130
; %bb.129:                              ;   in Loop: Header=BB36_3 Depth=1
	global_load_ubyte v7, v[0:1], off offset:8
	global_load_ubyte v8, v[0:1], off
	global_load_ubyte v9, v[0:1], off offset:4
	s_waitcnt vmcnt(2)
	v_and_b32_e32 v10, 15, v7
	s_waitcnt vmcnt(1)
	v_lshrrev_b16_e32 v8, 2, v8
	s_waitcnt vmcnt(0)
	v_lshrrev_b16_e32 v9, 2, v9
	v_lshrrev_b16_e32 v7, 4, v7
	v_and_b32_e32 v8, 48, v8
	v_and_b32_e32 v9, 48, v9
	v_or_b32_e32 v8, v8, v10
	v_or_b32_e32 v7, v9, v7
	s_cbranch_execz .LBB36_131
	s_branch .LBB36_132
.LBB36_130:                             ;   in Loop: Header=BB36_3 Depth=1
                                        ; implicit-def: $vgpr7
                                        ; implicit-def: $vgpr8
.LBB36_131:                             ;   in Loop: Header=BB36_3 Depth=1
	global_load_ubyte v7, v[0:1], off offset:4
	s_nop 0
	global_load_ubyte v0, v[0:1], off offset:8
	s_waitcnt vmcnt(1)
	v_and_b32_e32 v8, 63, v7
	s_waitcnt vmcnt(0)
	v_and_b32_e32 v7, 63, v0
.LBB36_132:                             ;   in Loop: Header=BB36_3 Depth=1
	s_waitcnt vmcnt(1)
	v_lshrrev_b32_e32 v0, 4, v5
	s_waitcnt vmcnt(0)
	v_and_b32_e32 v1, s62, v6
	v_cndmask_b32_e64 v0, v0, v5, s[34:35]
	v_cmp_ne_u32_e32 vcc, 0, v1
	v_and_b32_e32 v0, 15, v0
	v_cndmask_b32_e64 v1, 0, 1, vcc
	v_lshl_or_b32 v0, v1, 4, v0
	v_cvt_f32_ubyte0_e32 v1, v8
	v_mul_f32_e32 v1, v3, v1
	v_cvt_f32_ubyte0_e32 v3, v7
	v_cvt_f32_ubyte0_e32 v0, v0
	v_mul_f32_e32 v3, v4, v3
	v_fma_f32 v0, v1, v0, -v3
.LBB36_133:                             ;   in Loop: Header=BB36_3 Depth=1
	s_or_b64 exec, exec, s[48:49]
	ds_write_b32 v96, v0 offset:128
	v_mov_b32_e32 v0, 0
	s_and_saveexec_b64 s[48:49], s[10:11]
	s_cbranch_execz .LBB36_159
; %bb.134:                              ;   in Loop: Header=BB36_3 Depth=1
	v_mov_b32_e32 v1, s65
	v_add_co_u32_e32 v0, vcc, s64, v62
	v_addc_co_u32_e32 v1, vcc, v1, v63, vcc
	global_load_ushort v3, v[0:1], off
	s_waitcnt vmcnt(0)
	v_lshrrev_b16_e32 v6, 8, v3
	v_perm_b32 v4, v6, v3, s41
	v_lshrrev_b32_e32 v5, 7, v6
	v_bfe_u32 v6, v6, 2, 5
	v_cmp_lt_i32_e32 vcc, 30, v6
	v_lshlrev_b32_e32 v3, 31, v5
	s_and_saveexec_b64 s[36:37], vcc
	s_xor_b64 s[36:37], exec, s[36:37]
; %bb.135:                              ;   in Loop: Header=BB36_3 Depth=1
	v_lshlrev_b32_e32 v3, 31, v5
	v_lshlrev_b32_e32 v4, 13, v4
	v_or3_b32 v3, v4, v3, s58
                                        ; implicit-def: $vgpr4
                                        ; implicit-def: $vgpr6
                                        ; implicit-def: $vgpr5
; %bb.136:                              ;   in Loop: Header=BB36_3 Depth=1
	s_andn2_saveexec_b64 s[36:37], s[36:37]
	s_cbranch_execz .LBB36_144
; %bb.137:                              ;   in Loop: Header=BB36_3 Depth=1
	v_and_b32_e32 v7, 0x3ff, v4
	v_cmp_ne_u32_e32 vcc, 0, v6
	s_and_saveexec_b64 s[50:51], vcc
	s_xor_b64 s[50:51], exec, s[50:51]
; %bb.138:                              ;   in Loop: Header=BB36_3 Depth=1
	v_lshlrev_b32_e32 v3, 31, v5
	v_lshlrev_b32_e32 v4, 23, v6
	;; [unrolled: 1-line block ×3, first 2 shown]
	v_or3_b32 v3, v4, v3, v5
	v_add_u32_e32 v3, 0x38000000, v3
                                        ; implicit-def: $vgpr7
                                        ; implicit-def: $vgpr4
                                        ; implicit-def: $vgpr5
; %bb.139:                              ;   in Loop: Header=BB36_3 Depth=1
	s_andn2_saveexec_b64 s[50:51], s[50:51]
	s_cbranch_execz .LBB36_143
; %bb.140:                              ;   in Loop: Header=BB36_3 Depth=1
	v_cmp_ne_u32_e32 vcc, 0, v7
	s_and_saveexec_b64 s[52:53], vcc
	s_xor_b64 s[52:53], exec, s[52:53]
; %bb.141:                              ;   in Loop: Header=BB36_3 Depth=1
	v_ffbh_u32_e32 v3, v7
	v_xor_b32_e32 v6, 31, v3
	v_sub_u32_e32 v6, 9, v6
	v_lshlrev_b32_e32 v4, v6, v4
	v_lshlrev_b32_e32 v5, 31, v5
	;; [unrolled: 1-line block ×4, first 2 shown]
	v_and_or_b32 v4, v4, s59, v5
	v_sub_u32_e32 v3, v4, v3
	v_add_u32_e32 v3, 0x43000000, v3
; %bb.142:                              ;   in Loop: Header=BB36_3 Depth=1
	s_andn2_saveexec_b64 s[52:53], s[52:53]
	s_or_b64 exec, exec, s[52:53]
.LBB36_143:                             ;   in Loop: Header=BB36_3 Depth=1
	s_or_b64 exec, exec, s[50:51]
.LBB36_144:                             ;   in Loop: Header=BB36_3 Depth=1
	s_or_b64 exec, exec, s[36:37]
	global_load_ushort v4, v[0:1], off offset:2
	s_waitcnt vmcnt(0)
	v_lshrrev_b16_e32 v7, 8, v4
	v_perm_b32 v5, v7, v4, s41
	v_lshrrev_b32_e32 v6, 7, v7
	v_bfe_u32 v7, v7, 2, 5
	v_cmp_lt_i32_e32 vcc, 30, v7
	v_lshlrev_b32_e32 v4, 31, v6
	s_and_saveexec_b64 s[36:37], vcc
	s_xor_b64 s[36:37], exec, s[36:37]
; %bb.145:                              ;   in Loop: Header=BB36_3 Depth=1
	v_lshlrev_b32_e32 v4, 31, v6
	v_lshlrev_b32_e32 v5, 13, v5
	v_or3_b32 v4, v5, v4, s58
                                        ; implicit-def: $vgpr5
                                        ; implicit-def: $vgpr7
                                        ; implicit-def: $vgpr6
; %bb.146:                              ;   in Loop: Header=BB36_3 Depth=1
	s_andn2_saveexec_b64 s[36:37], s[36:37]
	s_cbranch_execz .LBB36_154
; %bb.147:                              ;   in Loop: Header=BB36_3 Depth=1
	v_and_b32_e32 v8, 0x3ff, v5
	v_cmp_ne_u32_e32 vcc, 0, v7
	s_and_saveexec_b64 s[50:51], vcc
	s_xor_b64 s[50:51], exec, s[50:51]
; %bb.148:                              ;   in Loop: Header=BB36_3 Depth=1
	v_lshlrev_b32_e32 v4, 31, v6
	v_lshlrev_b32_e32 v5, 23, v7
	;; [unrolled: 1-line block ×3, first 2 shown]
	v_or3_b32 v4, v5, v4, v6
	v_add_u32_e32 v4, 0x38000000, v4
                                        ; implicit-def: $vgpr8
                                        ; implicit-def: $vgpr5
                                        ; implicit-def: $vgpr6
; %bb.149:                              ;   in Loop: Header=BB36_3 Depth=1
	s_andn2_saveexec_b64 s[50:51], s[50:51]
	s_cbranch_execz .LBB36_153
; %bb.150:                              ;   in Loop: Header=BB36_3 Depth=1
	v_cmp_ne_u32_e32 vcc, 0, v8
	s_and_saveexec_b64 s[52:53], vcc
	s_xor_b64 s[52:53], exec, s[52:53]
; %bb.151:                              ;   in Loop: Header=BB36_3 Depth=1
	v_ffbh_u32_e32 v4, v8
	v_xor_b32_e32 v7, 31, v4
	v_sub_u32_e32 v7, 9, v7
	v_lshlrev_b32_e32 v5, v7, v5
	v_lshlrev_b32_e32 v6, 31, v6
	;; [unrolled: 1-line block ×4, first 2 shown]
	v_and_or_b32 v5, v5, s59, v6
	v_sub_u32_e32 v4, v5, v4
	v_add_u32_e32 v4, 0x43000000, v4
; %bb.152:                              ;   in Loop: Header=BB36_3 Depth=1
	s_andn2_saveexec_b64 s[52:53], s[52:53]
	s_or_b64 exec, exec, s[52:53]
.LBB36_153:                             ;   in Loop: Header=BB36_3 Depth=1
	s_or_b64 exec, exec, s[50:51]
.LBB36_154:                             ;   in Loop: Header=BB36_3 Depth=1
	s_or_b64 exec, exec, s[36:37]
	v_add_co_u32_e32 v6, vcc, v0, v2
	v_addc_co_u32_e32 v7, vcc, 0, v1, vcc
	v_add_co_u32_e32 v8, vcc, v0, v32
	v_addc_co_u32_e32 v9, vcc, 0, v1, vcc
	global_load_ubyte v5, v[6:7], off offset:48
	s_nop 0
	global_load_ubyte v6, v[8:9], off offset:16
	v_add_co_u32_e64 v0, s[36:37], s63, v0
	s_andn2_b64 vcc, exec, s[38:39]
	v_addc_co_u32_e64 v1, s[36:37], 0, v1, s[36:37]
	s_cbranch_vccnz .LBB36_156
; %bb.155:                              ;   in Loop: Header=BB36_3 Depth=1
	global_load_ubyte v7, v[0:1], off offset:8
	global_load_ubyte v8, v[0:1], off
	global_load_ubyte v9, v[0:1], off offset:4
	s_waitcnt vmcnt(2)
	v_and_b32_e32 v10, 15, v7
	s_waitcnt vmcnt(1)
	v_lshrrev_b16_e32 v8, 2, v8
	s_waitcnt vmcnt(0)
	v_lshrrev_b16_e32 v9, 2, v9
	v_lshrrev_b16_e32 v7, 4, v7
	v_and_b32_e32 v8, 48, v8
	v_and_b32_e32 v9, 48, v9
	v_or_b32_e32 v8, v8, v10
	v_or_b32_e32 v7, v9, v7
	s_cbranch_execz .LBB36_157
	s_branch .LBB36_158
.LBB36_156:                             ;   in Loop: Header=BB36_3 Depth=1
                                        ; implicit-def: $vgpr7
                                        ; implicit-def: $vgpr8
.LBB36_157:                             ;   in Loop: Header=BB36_3 Depth=1
	global_load_ubyte v7, v[0:1], off offset:4
	s_nop 0
	global_load_ubyte v0, v[0:1], off offset:8
	s_waitcnt vmcnt(1)
	v_and_b32_e32 v8, 63, v7
	s_waitcnt vmcnt(0)
	v_and_b32_e32 v7, 63, v0
.LBB36_158:                             ;   in Loop: Header=BB36_3 Depth=1
	s_waitcnt vmcnt(1)
	v_lshrrev_b32_e32 v0, 4, v5
	s_waitcnt vmcnt(0)
	v_and_b32_e32 v1, s62, v6
	v_cndmask_b32_e64 v0, v0, v5, s[34:35]
	v_cmp_ne_u32_e32 vcc, 0, v1
	v_and_b32_e32 v0, 15, v0
	v_cndmask_b32_e64 v1, 0, 1, vcc
	v_lshl_or_b32 v0, v1, 4, v0
	v_cvt_f32_ubyte0_e32 v1, v8
	v_mul_f32_e32 v1, v3, v1
	v_cvt_f32_ubyte0_e32 v3, v7
	v_cvt_f32_ubyte0_e32 v0, v0
	v_mul_f32_e32 v3, v4, v3
	v_fma_f32 v0, v1, v0, -v3
.LBB36_159:                             ;   in Loop: Header=BB36_3 Depth=1
	s_or_b64 exec, exec, s[48:49]
	ds_write_b32 v100, v0
	v_mov_b32_e32 v0, 0
	s_and_saveexec_b64 s[48:49], s[12:13]
	s_cbranch_execz .LBB36_185
; %bb.160:                              ;   in Loop: Header=BB36_3 Depth=1
	v_mov_b32_e32 v1, s65
	v_add_co_u32_e32 v0, vcc, s64, v64
	v_addc_co_u32_e32 v1, vcc, v1, v65, vcc
	global_load_ushort v3, v[0:1], off
	s_waitcnt vmcnt(0)
	v_lshrrev_b16_e32 v6, 8, v3
	v_perm_b32 v4, v6, v3, s41
	v_lshrrev_b32_e32 v5, 7, v6
	v_bfe_u32 v6, v6, 2, 5
	v_cmp_lt_i32_e32 vcc, 30, v6
	v_lshlrev_b32_e32 v3, 31, v5
	s_and_saveexec_b64 s[36:37], vcc
	s_xor_b64 s[36:37], exec, s[36:37]
; %bb.161:                              ;   in Loop: Header=BB36_3 Depth=1
	v_lshlrev_b32_e32 v3, 31, v5
	v_lshlrev_b32_e32 v4, 13, v4
	v_or3_b32 v3, v4, v3, s58
                                        ; implicit-def: $vgpr4
                                        ; implicit-def: $vgpr6
                                        ; implicit-def: $vgpr5
; %bb.162:                              ;   in Loop: Header=BB36_3 Depth=1
	s_andn2_saveexec_b64 s[36:37], s[36:37]
	s_cbranch_execz .LBB36_170
; %bb.163:                              ;   in Loop: Header=BB36_3 Depth=1
	v_and_b32_e32 v7, 0x3ff, v4
	v_cmp_ne_u32_e32 vcc, 0, v6
	s_and_saveexec_b64 s[50:51], vcc
	s_xor_b64 s[50:51], exec, s[50:51]
; %bb.164:                              ;   in Loop: Header=BB36_3 Depth=1
	v_lshlrev_b32_e32 v3, 31, v5
	v_lshlrev_b32_e32 v4, 23, v6
	;; [unrolled: 1-line block ×3, first 2 shown]
	v_or3_b32 v3, v4, v3, v5
	v_add_u32_e32 v3, 0x38000000, v3
                                        ; implicit-def: $vgpr7
                                        ; implicit-def: $vgpr4
                                        ; implicit-def: $vgpr5
; %bb.165:                              ;   in Loop: Header=BB36_3 Depth=1
	s_andn2_saveexec_b64 s[50:51], s[50:51]
	s_cbranch_execz .LBB36_169
; %bb.166:                              ;   in Loop: Header=BB36_3 Depth=1
	v_cmp_ne_u32_e32 vcc, 0, v7
	s_and_saveexec_b64 s[52:53], vcc
	s_xor_b64 s[52:53], exec, s[52:53]
; %bb.167:                              ;   in Loop: Header=BB36_3 Depth=1
	v_ffbh_u32_e32 v3, v7
	v_xor_b32_e32 v6, 31, v3
	v_sub_u32_e32 v6, 9, v6
	v_lshlrev_b32_e32 v4, v6, v4
	v_lshlrev_b32_e32 v5, 31, v5
	;; [unrolled: 1-line block ×4, first 2 shown]
	v_and_or_b32 v4, v4, s59, v5
	v_sub_u32_e32 v3, v4, v3
	v_add_u32_e32 v3, 0x43000000, v3
; %bb.168:                              ;   in Loop: Header=BB36_3 Depth=1
	s_andn2_saveexec_b64 s[52:53], s[52:53]
	s_or_b64 exec, exec, s[52:53]
.LBB36_169:                             ;   in Loop: Header=BB36_3 Depth=1
	s_or_b64 exec, exec, s[50:51]
.LBB36_170:                             ;   in Loop: Header=BB36_3 Depth=1
	s_or_b64 exec, exec, s[36:37]
	global_load_ushort v4, v[0:1], off offset:2
	s_waitcnt vmcnt(0)
	v_lshrrev_b16_e32 v7, 8, v4
	v_perm_b32 v5, v7, v4, s41
	v_lshrrev_b32_e32 v6, 7, v7
	v_bfe_u32 v7, v7, 2, 5
	v_cmp_lt_i32_e32 vcc, 30, v7
	v_lshlrev_b32_e32 v4, 31, v6
	s_and_saveexec_b64 s[36:37], vcc
	s_xor_b64 s[36:37], exec, s[36:37]
; %bb.171:                              ;   in Loop: Header=BB36_3 Depth=1
	v_lshlrev_b32_e32 v4, 31, v6
	v_lshlrev_b32_e32 v5, 13, v5
	v_or3_b32 v4, v5, v4, s58
                                        ; implicit-def: $vgpr5
                                        ; implicit-def: $vgpr7
                                        ; implicit-def: $vgpr6
; %bb.172:                              ;   in Loop: Header=BB36_3 Depth=1
	s_andn2_saveexec_b64 s[36:37], s[36:37]
	s_cbranch_execz .LBB36_180
; %bb.173:                              ;   in Loop: Header=BB36_3 Depth=1
	v_and_b32_e32 v8, 0x3ff, v5
	v_cmp_ne_u32_e32 vcc, 0, v7
	s_and_saveexec_b64 s[50:51], vcc
	s_xor_b64 s[50:51], exec, s[50:51]
; %bb.174:                              ;   in Loop: Header=BB36_3 Depth=1
	v_lshlrev_b32_e32 v4, 31, v6
	v_lshlrev_b32_e32 v5, 23, v7
	;; [unrolled: 1-line block ×3, first 2 shown]
	v_or3_b32 v4, v5, v4, v6
	v_add_u32_e32 v4, 0x38000000, v4
                                        ; implicit-def: $vgpr8
                                        ; implicit-def: $vgpr5
                                        ; implicit-def: $vgpr6
; %bb.175:                              ;   in Loop: Header=BB36_3 Depth=1
	s_andn2_saveexec_b64 s[50:51], s[50:51]
	s_cbranch_execz .LBB36_179
; %bb.176:                              ;   in Loop: Header=BB36_3 Depth=1
	v_cmp_ne_u32_e32 vcc, 0, v8
	s_and_saveexec_b64 s[52:53], vcc
	s_xor_b64 s[52:53], exec, s[52:53]
; %bb.177:                              ;   in Loop: Header=BB36_3 Depth=1
	v_ffbh_u32_e32 v4, v8
	v_xor_b32_e32 v7, 31, v4
	v_sub_u32_e32 v7, 9, v7
	v_lshlrev_b32_e32 v5, v7, v5
	v_lshlrev_b32_e32 v6, 31, v6
	;; [unrolled: 1-line block ×4, first 2 shown]
	v_and_or_b32 v5, v5, s59, v6
	v_sub_u32_e32 v4, v5, v4
	v_add_u32_e32 v4, 0x43000000, v4
; %bb.178:                              ;   in Loop: Header=BB36_3 Depth=1
	s_andn2_saveexec_b64 s[52:53], s[52:53]
	s_or_b64 exec, exec, s[52:53]
.LBB36_179:                             ;   in Loop: Header=BB36_3 Depth=1
	s_or_b64 exec, exec, s[50:51]
.LBB36_180:                             ;   in Loop: Header=BB36_3 Depth=1
	s_or_b64 exec, exec, s[36:37]
	v_add_co_u32_e32 v6, vcc, v0, v2
	v_addc_co_u32_e32 v7, vcc, 0, v1, vcc
	v_add_co_u32_e32 v8, vcc, v0, v32
	v_addc_co_u32_e32 v9, vcc, 0, v1, vcc
	global_load_ubyte v5, v[6:7], off offset:48
	s_nop 0
	global_load_ubyte v6, v[8:9], off offset:16
	v_add_co_u32_e64 v0, s[36:37], s63, v0
	s_andn2_b64 vcc, exec, s[38:39]
	v_addc_co_u32_e64 v1, s[36:37], 0, v1, s[36:37]
	s_cbranch_vccnz .LBB36_182
; %bb.181:                              ;   in Loop: Header=BB36_3 Depth=1
	global_load_ubyte v7, v[0:1], off offset:8
	global_load_ubyte v8, v[0:1], off
	global_load_ubyte v9, v[0:1], off offset:4
	s_waitcnt vmcnt(2)
	v_and_b32_e32 v10, 15, v7
	s_waitcnt vmcnt(1)
	v_lshrrev_b16_e32 v8, 2, v8
	s_waitcnt vmcnt(0)
	v_lshrrev_b16_e32 v9, 2, v9
	v_lshrrev_b16_e32 v7, 4, v7
	v_and_b32_e32 v8, 48, v8
	v_and_b32_e32 v9, 48, v9
	v_or_b32_e32 v8, v8, v10
	v_or_b32_e32 v7, v9, v7
	s_cbranch_execz .LBB36_183
	s_branch .LBB36_184
.LBB36_182:                             ;   in Loop: Header=BB36_3 Depth=1
                                        ; implicit-def: $vgpr7
                                        ; implicit-def: $vgpr8
.LBB36_183:                             ;   in Loop: Header=BB36_3 Depth=1
	global_load_ubyte v7, v[0:1], off offset:4
	s_nop 0
	global_load_ubyte v0, v[0:1], off offset:8
	s_waitcnt vmcnt(1)
	v_and_b32_e32 v8, 63, v7
	s_waitcnt vmcnt(0)
	v_and_b32_e32 v7, 63, v0
.LBB36_184:                             ;   in Loop: Header=BB36_3 Depth=1
	s_waitcnt vmcnt(1)
	v_lshrrev_b32_e32 v0, 4, v5
	s_waitcnt vmcnt(0)
	v_and_b32_e32 v1, s62, v6
	v_cndmask_b32_e64 v0, v0, v5, s[34:35]
	v_cmp_ne_u32_e32 vcc, 0, v1
	v_and_b32_e32 v0, 15, v0
	v_cndmask_b32_e64 v1, 0, 1, vcc
	v_lshl_or_b32 v0, v1, 4, v0
	v_cvt_f32_ubyte0_e32 v1, v8
	v_mul_f32_e32 v1, v3, v1
	v_cvt_f32_ubyte0_e32 v3, v7
	v_cvt_f32_ubyte0_e32 v0, v0
	v_mul_f32_e32 v3, v4, v3
	v_fma_f32 v0, v1, v0, -v3
.LBB36_185:                             ;   in Loop: Header=BB36_3 Depth=1
	s_or_b64 exec, exec, s[48:49]
	ds_write_b32 v101, v0
	v_mov_b32_e32 v0, 0
	s_and_saveexec_b64 s[48:49], s[14:15]
	s_cbranch_execz .LBB36_211
; %bb.186:                              ;   in Loop: Header=BB36_3 Depth=1
	v_mov_b32_e32 v1, s65
	v_add_co_u32_e32 v0, vcc, s64, v66
	v_addc_co_u32_e32 v1, vcc, v1, v67, vcc
	global_load_ushort v3, v[0:1], off
	s_waitcnt vmcnt(0)
	v_lshrrev_b16_e32 v6, 8, v3
	v_perm_b32 v4, v6, v3, s41
	v_lshrrev_b32_e32 v5, 7, v6
	v_bfe_u32 v6, v6, 2, 5
	v_cmp_lt_i32_e32 vcc, 30, v6
	v_lshlrev_b32_e32 v3, 31, v5
	s_and_saveexec_b64 s[36:37], vcc
	s_xor_b64 s[36:37], exec, s[36:37]
; %bb.187:                              ;   in Loop: Header=BB36_3 Depth=1
	v_lshlrev_b32_e32 v3, 31, v5
	v_lshlrev_b32_e32 v4, 13, v4
	v_or3_b32 v3, v4, v3, s58
                                        ; implicit-def: $vgpr4
                                        ; implicit-def: $vgpr6
                                        ; implicit-def: $vgpr5
; %bb.188:                              ;   in Loop: Header=BB36_3 Depth=1
	s_andn2_saveexec_b64 s[36:37], s[36:37]
	s_cbranch_execz .LBB36_196
; %bb.189:                              ;   in Loop: Header=BB36_3 Depth=1
	v_and_b32_e32 v7, 0x3ff, v4
	v_cmp_ne_u32_e32 vcc, 0, v6
	s_and_saveexec_b64 s[50:51], vcc
	s_xor_b64 s[50:51], exec, s[50:51]
; %bb.190:                              ;   in Loop: Header=BB36_3 Depth=1
	v_lshlrev_b32_e32 v3, 31, v5
	v_lshlrev_b32_e32 v4, 23, v6
	;; [unrolled: 1-line block ×3, first 2 shown]
	v_or3_b32 v3, v4, v3, v5
	v_add_u32_e32 v3, 0x38000000, v3
                                        ; implicit-def: $vgpr7
                                        ; implicit-def: $vgpr4
                                        ; implicit-def: $vgpr5
; %bb.191:                              ;   in Loop: Header=BB36_3 Depth=1
	s_andn2_saveexec_b64 s[50:51], s[50:51]
	s_cbranch_execz .LBB36_195
; %bb.192:                              ;   in Loop: Header=BB36_3 Depth=1
	v_cmp_ne_u32_e32 vcc, 0, v7
	s_and_saveexec_b64 s[52:53], vcc
	s_xor_b64 s[52:53], exec, s[52:53]
; %bb.193:                              ;   in Loop: Header=BB36_3 Depth=1
	v_ffbh_u32_e32 v3, v7
	v_xor_b32_e32 v6, 31, v3
	v_sub_u32_e32 v6, 9, v6
	v_lshlrev_b32_e32 v4, v6, v4
	v_lshlrev_b32_e32 v5, 31, v5
	;; [unrolled: 1-line block ×4, first 2 shown]
	v_and_or_b32 v4, v4, s59, v5
	v_sub_u32_e32 v3, v4, v3
	v_add_u32_e32 v3, 0x43000000, v3
; %bb.194:                              ;   in Loop: Header=BB36_3 Depth=1
	s_andn2_saveexec_b64 s[52:53], s[52:53]
	s_or_b64 exec, exec, s[52:53]
.LBB36_195:                             ;   in Loop: Header=BB36_3 Depth=1
	s_or_b64 exec, exec, s[50:51]
.LBB36_196:                             ;   in Loop: Header=BB36_3 Depth=1
	s_or_b64 exec, exec, s[36:37]
	global_load_ushort v4, v[0:1], off offset:2
	s_waitcnt vmcnt(0)
	v_lshrrev_b16_e32 v7, 8, v4
	v_perm_b32 v5, v7, v4, s41
	v_lshrrev_b32_e32 v6, 7, v7
	v_bfe_u32 v7, v7, 2, 5
	v_cmp_lt_i32_e32 vcc, 30, v7
	v_lshlrev_b32_e32 v4, 31, v6
	s_and_saveexec_b64 s[36:37], vcc
	s_xor_b64 s[36:37], exec, s[36:37]
; %bb.197:                              ;   in Loop: Header=BB36_3 Depth=1
	v_lshlrev_b32_e32 v4, 31, v6
	v_lshlrev_b32_e32 v5, 13, v5
	v_or3_b32 v4, v5, v4, s58
                                        ; implicit-def: $vgpr5
                                        ; implicit-def: $vgpr7
                                        ; implicit-def: $vgpr6
; %bb.198:                              ;   in Loop: Header=BB36_3 Depth=1
	s_andn2_saveexec_b64 s[36:37], s[36:37]
	s_cbranch_execz .LBB36_206
; %bb.199:                              ;   in Loop: Header=BB36_3 Depth=1
	v_and_b32_e32 v8, 0x3ff, v5
	v_cmp_ne_u32_e32 vcc, 0, v7
	s_and_saveexec_b64 s[50:51], vcc
	s_xor_b64 s[50:51], exec, s[50:51]
; %bb.200:                              ;   in Loop: Header=BB36_3 Depth=1
	v_lshlrev_b32_e32 v4, 31, v6
	v_lshlrev_b32_e32 v5, 23, v7
	;; [unrolled: 1-line block ×3, first 2 shown]
	v_or3_b32 v4, v5, v4, v6
	v_add_u32_e32 v4, 0x38000000, v4
                                        ; implicit-def: $vgpr8
                                        ; implicit-def: $vgpr5
                                        ; implicit-def: $vgpr6
; %bb.201:                              ;   in Loop: Header=BB36_3 Depth=1
	s_andn2_saveexec_b64 s[50:51], s[50:51]
	s_cbranch_execz .LBB36_205
; %bb.202:                              ;   in Loop: Header=BB36_3 Depth=1
	v_cmp_ne_u32_e32 vcc, 0, v8
	s_and_saveexec_b64 s[52:53], vcc
	s_xor_b64 s[52:53], exec, s[52:53]
; %bb.203:                              ;   in Loop: Header=BB36_3 Depth=1
	v_ffbh_u32_e32 v4, v8
	v_xor_b32_e32 v7, 31, v4
	v_sub_u32_e32 v7, 9, v7
	v_lshlrev_b32_e32 v5, v7, v5
	v_lshlrev_b32_e32 v6, 31, v6
	;; [unrolled: 1-line block ×4, first 2 shown]
	v_and_or_b32 v5, v5, s59, v6
	v_sub_u32_e32 v4, v5, v4
	v_add_u32_e32 v4, 0x43000000, v4
; %bb.204:                              ;   in Loop: Header=BB36_3 Depth=1
	s_andn2_saveexec_b64 s[52:53], s[52:53]
	s_or_b64 exec, exec, s[52:53]
.LBB36_205:                             ;   in Loop: Header=BB36_3 Depth=1
	s_or_b64 exec, exec, s[50:51]
.LBB36_206:                             ;   in Loop: Header=BB36_3 Depth=1
	s_or_b64 exec, exec, s[36:37]
	v_add_co_u32_e32 v6, vcc, v0, v2
	v_addc_co_u32_e32 v7, vcc, 0, v1, vcc
	v_add_co_u32_e32 v8, vcc, v0, v32
	v_addc_co_u32_e32 v9, vcc, 0, v1, vcc
	global_load_ubyte v2, v[6:7], off offset:48
	global_load_ubyte v5, v[8:9], off offset:16
	v_add_co_u32_e64 v0, s[36:37], s63, v0
	s_andn2_b64 vcc, exec, s[38:39]
	v_addc_co_u32_e64 v1, s[36:37], 0, v1, s[36:37]
	s_cbranch_vccnz .LBB36_208
; %bb.207:                              ;   in Loop: Header=BB36_3 Depth=1
	global_load_ubyte v6, v[0:1], off offset:8
	global_load_ubyte v7, v[0:1], off
	global_load_ubyte v8, v[0:1], off offset:4
	s_waitcnt vmcnt(2)
	v_and_b32_e32 v9, 15, v6
	s_waitcnt vmcnt(1)
	v_lshrrev_b16_e32 v7, 2, v7
	s_waitcnt vmcnt(0)
	v_lshrrev_b16_e32 v8, 2, v8
	v_lshrrev_b16_e32 v6, 4, v6
	v_and_b32_e32 v7, 48, v7
	v_and_b32_e32 v8, 48, v8
	v_or_b32_e32 v7, v7, v9
	v_or_b32_e32 v6, v8, v6
	s_cbranch_execz .LBB36_209
	s_branch .LBB36_210
.LBB36_208:                             ;   in Loop: Header=BB36_3 Depth=1
                                        ; implicit-def: $vgpr6
                                        ; implicit-def: $vgpr7
.LBB36_209:                             ;   in Loop: Header=BB36_3 Depth=1
	global_load_ubyte v6, v[0:1], off offset:4
	s_nop 0
	global_load_ubyte v0, v[0:1], off offset:8
	s_waitcnt vmcnt(1)
	v_and_b32_e32 v7, 63, v6
	s_waitcnt vmcnt(0)
	v_and_b32_e32 v6, 63, v0
.LBB36_210:                             ;   in Loop: Header=BB36_3 Depth=1
	s_waitcnt vmcnt(1)
	v_lshrrev_b32_e32 v0, 4, v2
	s_waitcnt vmcnt(0)
	v_and_b32_e32 v1, s62, v5
	v_cndmask_b32_e64 v0, v0, v2, s[34:35]
	v_cmp_ne_u32_e32 vcc, 0, v1
	v_and_b32_e32 v0, 15, v0
	v_cndmask_b32_e64 v1, 0, 1, vcc
	v_lshl_or_b32 v0, v1, 4, v0
	v_cvt_f32_ubyte0_e32 v1, v7
	v_cvt_f32_ubyte0_e32 v2, v6
	v_mul_f32_e32 v1, v3, v1
	v_cvt_f32_ubyte0_e32 v0, v0
	v_mul_f32_e32 v2, v4, v2
	v_fma_f32 v0, v1, v0, -v2
.LBB36_211:                             ;   in Loop: Header=BB36_3 Depth=1
	s_or_b64 exec, exec, s[48:49]
	ds_write_b32 v102, v0
	v_mov_b32_e32 v0, 0
	v_mov_b32_e32 v1, 0
	s_and_saveexec_b64 s[34:35], s[16:17]
	s_cbranch_execz .LBB36_213
; %bb.212:                              ;   in Loop: Header=BB36_3 Depth=1
	v_add_co_u32_e32 v2, vcc, v50, v68
	v_addc_co_u32_e32 v3, vcc, 0, v49, vcc
	global_load_dword v1, v[2:3], off
.LBB36_213:                             ;   in Loop: Header=BB36_3 Depth=1
	s_or_b64 exec, exec, s[34:35]
	s_waitcnt vmcnt(0)
	ds_write_b32 v87, v1
	s_and_saveexec_b64 s[34:35], s[18:19]
	s_cbranch_execz .LBB36_215
; %bb.214:                              ;   in Loop: Header=BB36_3 Depth=1
	v_add_co_u32_e32 v0, vcc, v48, v68
	v_addc_co_u32_e32 v1, vcc, 0, v47, vcc
	global_load_dword v0, v[0:1], off
.LBB36_215:                             ;   in Loop: Header=BB36_3 Depth=1
	s_or_b64 exec, exec, s[34:35]
	s_waitcnt vmcnt(0)
	ds_write_b32 v88, v0
	v_mov_b32_e32 v0, 0
	v_mov_b32_e32 v1, 0
	s_and_saveexec_b64 s[34:35], s[20:21]
	s_cbranch_execz .LBB36_217
; %bb.216:                              ;   in Loop: Header=BB36_3 Depth=1
	v_add_co_u32_e32 v2, vcc, v46, v68
	v_addc_co_u32_e32 v3, vcc, 0, v45, vcc
	global_load_dword v1, v[2:3], off
.LBB36_217:                             ;   in Loop: Header=BB36_3 Depth=1
	s_or_b64 exec, exec, s[34:35]
	s_waitcnt vmcnt(0)
	ds_write_b32 v89, v1
	s_and_saveexec_b64 s[34:35], s[22:23]
	s_cbranch_execz .LBB36_219
; %bb.218:                              ;   in Loop: Header=BB36_3 Depth=1
	v_add_co_u32_e32 v0, vcc, v44, v68
	v_addc_co_u32_e32 v1, vcc, 0, v43, vcc
	global_load_dword v0, v[0:1], off
.LBB36_219:                             ;   in Loop: Header=BB36_3 Depth=1
	s_or_b64 exec, exec, s[34:35]
	s_waitcnt vmcnt(0)
	ds_write_b32 v90, v0
	v_mov_b32_e32 v0, 0
	v_mov_b32_e32 v1, 0
	s_and_saveexec_b64 s[34:35], s[24:25]
	s_cbranch_execz .LBB36_221
; %bb.220:                              ;   in Loop: Header=BB36_3 Depth=1
	v_add_co_u32_e32 v2, vcc, v42, v68
	v_addc_co_u32_e32 v3, vcc, 0, v41, vcc
	global_load_dword v1, v[2:3], off
.LBB36_221:                             ;   in Loop: Header=BB36_3 Depth=1
	s_or_b64 exec, exec, s[34:35]
	s_waitcnt vmcnt(0)
	ds_write_b32 v87, v1 offset:128
	s_and_saveexec_b64 s[34:35], s[26:27]
	s_cbranch_execz .LBB36_223
; %bb.222:                              ;   in Loop: Header=BB36_3 Depth=1
	v_add_co_u32_e32 v0, vcc, v40, v68
	v_addc_co_u32_e32 v1, vcc, 0, v39, vcc
	global_load_dword v0, v[0:1], off
.LBB36_223:                             ;   in Loop: Header=BB36_3 Depth=1
	s_or_b64 exec, exec, s[34:35]
	s_waitcnt vmcnt(0)
	ds_write_b32 v91, v0
	v_mov_b32_e32 v0, 0
	v_mov_b32_e32 v1, 0
	s_and_saveexec_b64 s[34:35], s[28:29]
	s_cbranch_execz .LBB36_225
; %bb.224:                              ;   in Loop: Header=BB36_3 Depth=1
	v_add_co_u32_e32 v2, vcc, v38, v68
	v_addc_co_u32_e32 v3, vcc, 0, v37, vcc
	global_load_dword v1, v[2:3], off
.LBB36_225:                             ;   in Loop: Header=BB36_3 Depth=1
	s_or_b64 exec, exec, s[34:35]
	s_waitcnt vmcnt(0)
	ds_write_b32 v92, v1
	s_and_saveexec_b64 s[34:35], s[30:31]
	s_cbranch_execz .LBB36_2
; %bb.226:                              ;   in Loop: Header=BB36_3 Depth=1
	v_add_co_u32_e32 v0, vcc, v36, v68
	v_addc_co_u32_e32 v1, vcc, 0, v33, vcc
	global_load_dword v0, v[0:1], off
	s_branch .LBB36_2
.LBB36_227:
                                        ; implicit-def: $vgpr79
                                        ; implicit-def: $vgpr77
                                        ; implicit-def: $vgpr75
                                        ; implicit-def: $vgpr71
                                        ; implicit-def: $vgpr73
                                        ; implicit-def: $vgpr35
                                        ; implicit-def: $vgpr31
                                        ; implicit-def: $vgpr29
                                        ; implicit-def: $vgpr51
                                        ; implicit-def: $vgpr69
	s_cbranch_execnz .LBB36_229
	s_branch .LBB36_230
.LBB36_228:
	s_branch .LBB36_230
.LBB36_229:
	v_mov_b32_e32 v28, 0
	v_mov_b32_e32 v69, v86
	;; [unrolled: 1-line block ×18, first 2 shown]
.LBB36_230:
	s_lshr_b32 s16, s46, 2
	s_cmp_lg_u32 s47, 0
	v_add_u32_e32 v5, s33, v51
	v_or_b32_e32 v4, s43, v69
	s_cselect_b64 s[0:1], -1, 0
	v_cmp_gt_u32_e64 s[10:11], s40, v5
	v_cmp_gt_u32_e64 s[2:3], s42, v4
	v_cndmask_b32_e64 v1, 0, 1, s[0:1]
	v_add_u32_e32 v0, s16, v5
	s_and_b64 s[4:5], s[10:11], s[2:3]
	v_cmp_ne_u32_e64 s[0:1], 1, v1
	s_and_saveexec_b64 s[6:7], s[4:5]
	s_cbranch_execz .LBB36_234
; %bb.231:
	v_mad_u64_u32 v[2:3], s[4:5], v4, s40, v[0:1]
	v_mov_b32_e32 v3, 0
	v_lshlrev_b64 v[2:3], 2, v[2:3]
	v_mov_b32_e32 v1, s45
	v_add_co_u32_e64 v2, s[4:5], s44, v2
	s_and_b64 vcc, exec, s[0:1]
	v_addc_co_u32_e64 v3, s[4:5], v1, v3, s[4:5]
	s_cbranch_vccnz .LBB36_233
; %bb.232:
	global_load_dword v1, v[2:3], off
	s_waitcnt vmcnt(0)
	v_add_f32_e32 v78, v78, v1
.LBB36_233:
	global_store_dword v[2:3], v78, off
.LBB36_234:
	s_or_b64 exec, exec, s[6:7]
	v_or_b32_e32 v6, 1, v4
	v_cmp_gt_u32_e64 s[4:5], s42, v6
	s_and_b64 s[6:7], s[10:11], s[4:5]
	s_and_saveexec_b64 s[8:9], s[6:7]
	s_cbranch_execz .LBB36_238
; %bb.235:
	v_mad_u64_u32 v[2:3], s[6:7], v6, s40, v[0:1]
	v_mov_b32_e32 v3, 0
	v_lshlrev_b64 v[2:3], 2, v[2:3]
	v_mov_b32_e32 v1, s45
	v_add_co_u32_e64 v2, s[6:7], s44, v2
	s_and_b64 vcc, exec, s[0:1]
	v_addc_co_u32_e64 v3, s[6:7], v1, v3, s[6:7]
	s_cbranch_vccnz .LBB36_237
; %bb.236:
	global_load_dword v1, v[2:3], off
	s_waitcnt vmcnt(0)
	v_add_f32_e32 v79, v79, v1
.LBB36_237:
	global_store_dword v[2:3], v79, off
.LBB36_238:
	s_or_b64 exec, exec, s[8:9]
	v_or_b32_e32 v7, 2, v4
	v_cmp_gt_u32_e64 s[6:7], s42, v7
	s_and_b64 s[8:9], s[10:11], s[6:7]
	s_and_saveexec_b64 s[12:13], s[8:9]
	s_cbranch_execz .LBB36_242
; %bb.239:
	v_mad_u64_u32 v[2:3], s[8:9], v7, s40, v[0:1]
	v_mov_b32_e32 v3, 0
	v_lshlrev_b64 v[2:3], 2, v[2:3]
	v_mov_b32_e32 v1, s45
	v_add_co_u32_e64 v2, s[8:9], s44, v2
	s_and_b64 vcc, exec, s[0:1]
	v_addc_co_u32_e64 v3, s[8:9], v1, v3, s[8:9]
	s_cbranch_vccnz .LBB36_241
; %bb.240:
	global_load_dword v1, v[2:3], off
	s_waitcnt vmcnt(0)
	v_add_f32_e32 v76, v76, v1
.LBB36_241:
	global_store_dword v[2:3], v76, off
.LBB36_242:
	s_or_b64 exec, exec, s[12:13]
	v_or_b32_e32 v8, 3, v4
	v_cmp_gt_u32_e64 s[8:9], s42, v8
	s_and_b64 s[10:11], s[10:11], s[8:9]
	s_and_saveexec_b64 s[12:13], s[10:11]
	s_cbranch_execz .LBB36_246
; %bb.243:
	v_mad_u64_u32 v[0:1], s[10:11], v8, s40, v[0:1]
	v_mov_b32_e32 v1, 0
	v_lshlrev_b64 v[0:1], 2, v[0:1]
	v_mov_b32_e32 v2, s45
	v_add_co_u32_e64 v0, s[10:11], s44, v0
	s_and_b64 vcc, exec, s[0:1]
	v_addc_co_u32_e64 v1, s[10:11], v2, v1, s[10:11]
	s_cbranch_vccnz .LBB36_245
; %bb.244:
	global_load_dword v2, v[0:1], off
	s_waitcnt vmcnt(0)
	v_add_f32_e32 v77, v77, v2
.LBB36_245:
	global_store_dword v[0:1], v77, off
.LBB36_246:
	s_or_b64 exec, exec, s[12:13]
	v_or_b32_e32 v0, 1, v5
	v_cmp_gt_u32_e64 s[10:11], s40, v0
	v_add_u32_e32 v0, s16, v0
	s_and_b64 s[12:13], s[10:11], s[2:3]
	s_and_saveexec_b64 s[14:15], s[12:13]
	s_cbranch_execnz .LBB36_250
; %bb.247:
	s_or_b64 exec, exec, s[14:15]
	s_and_b64 s[12:13], s[10:11], s[4:5]
	s_and_saveexec_b64 s[14:15], s[12:13]
	s_cbranch_execnz .LBB36_253
.LBB36_248:
	s_or_b64 exec, exec, s[14:15]
	s_and_b64 s[12:13], s[10:11], s[6:7]
	s_and_saveexec_b64 s[14:15], s[12:13]
	s_cbranch_execnz .LBB36_256
.LBB36_249:
	s_or_b64 exec, exec, s[14:15]
	s_and_b64 s[10:11], s[10:11], s[8:9]
	s_and_saveexec_b64 s[12:13], s[10:11]
	s_cbranch_execnz .LBB36_259
	s_branch .LBB36_262
.LBB36_250:
	v_mad_u64_u32 v[2:3], s[12:13], v4, s40, v[0:1]
	v_mov_b32_e32 v3, 0
	v_lshlrev_b64 v[2:3], 2, v[2:3]
	v_mov_b32_e32 v1, s45
	v_add_co_u32_e64 v2, s[12:13], s44, v2
	s_and_b64 vcc, exec, s[0:1]
	v_addc_co_u32_e64 v3, s[12:13], v1, v3, s[12:13]
	s_cbranch_vccnz .LBB36_252
; %bb.251:
	global_load_dword v1, v[2:3], off
	s_waitcnt vmcnt(0)
	v_add_f32_e32 v74, v74, v1
.LBB36_252:
	global_store_dword v[2:3], v74, off
	s_or_b64 exec, exec, s[14:15]
	s_and_b64 s[12:13], s[10:11], s[4:5]
	s_and_saveexec_b64 s[14:15], s[12:13]
	s_cbranch_execz .LBB36_248
.LBB36_253:
	v_mad_u64_u32 v[2:3], s[12:13], v6, s40, v[0:1]
	v_mov_b32_e32 v3, 0
	v_lshlrev_b64 v[2:3], 2, v[2:3]
	v_mov_b32_e32 v1, s45
	v_add_co_u32_e64 v2, s[12:13], s44, v2
	s_and_b64 vcc, exec, s[0:1]
	v_addc_co_u32_e64 v3, s[12:13], v1, v3, s[12:13]
	s_cbranch_vccnz .LBB36_255
; %bb.254:
	global_load_dword v1, v[2:3], off
	s_waitcnt vmcnt(0)
	v_add_f32_e32 v75, v75, v1
.LBB36_255:
	global_store_dword v[2:3], v75, off
	s_or_b64 exec, exec, s[14:15]
	s_and_b64 s[12:13], s[10:11], s[6:7]
	s_and_saveexec_b64 s[14:15], s[12:13]
	s_cbranch_execz .LBB36_249
.LBB36_256:
	v_mad_u64_u32 v[2:3], s[12:13], v7, s40, v[0:1]
	v_mov_b32_e32 v3, 0
	v_lshlrev_b64 v[2:3], 2, v[2:3]
	v_mov_b32_e32 v1, s45
	v_add_co_u32_e64 v2, s[12:13], s44, v2
	s_and_b64 vcc, exec, s[0:1]
	v_addc_co_u32_e64 v3, s[12:13], v1, v3, s[12:13]
	s_cbranch_vccnz .LBB36_258
; %bb.257:
	global_load_dword v1, v[2:3], off
	s_waitcnt vmcnt(0)
	v_add_f32_e32 v70, v70, v1
.LBB36_258:
	global_store_dword v[2:3], v70, off
	s_or_b64 exec, exec, s[14:15]
	s_and_b64 s[10:11], s[10:11], s[8:9]
	s_and_saveexec_b64 s[12:13], s[10:11]
	s_cbranch_execz .LBB36_262
.LBB36_259:
	v_mad_u64_u32 v[0:1], s[10:11], v8, s40, v[0:1]
	v_mov_b32_e32 v1, 0
	v_lshlrev_b64 v[0:1], 2, v[0:1]
	v_mov_b32_e32 v2, s45
	v_add_co_u32_e64 v0, s[10:11], s44, v0
	s_and_b64 vcc, exec, s[0:1]
	v_addc_co_u32_e64 v1, s[10:11], v2, v1, s[10:11]
	s_cbranch_vccnz .LBB36_261
; %bb.260:
	global_load_dword v2, v[0:1], off
	s_waitcnt vmcnt(0)
	v_add_f32_e32 v71, v71, v2
.LBB36_261:
	global_store_dword v[0:1], v71, off
.LBB36_262:
	s_or_b64 exec, exec, s[12:13]
	v_or_b32_e32 v0, 2, v5
	v_cmp_gt_u32_e64 s[10:11], s40, v0
	v_add_u32_e32 v0, s16, v0
	s_and_b64 s[12:13], s[10:11], s[2:3]
	s_and_saveexec_b64 s[14:15], s[12:13]
	s_cbranch_execnz .LBB36_266
; %bb.263:
	s_or_b64 exec, exec, s[14:15]
	s_and_b64 s[12:13], s[10:11], s[4:5]
	s_and_saveexec_b64 s[14:15], s[12:13]
	s_cbranch_execnz .LBB36_269
.LBB36_264:
	s_or_b64 exec, exec, s[14:15]
	s_and_b64 s[12:13], s[10:11], s[6:7]
	s_and_saveexec_b64 s[14:15], s[12:13]
	s_cbranch_execnz .LBB36_272
.LBB36_265:
	s_or_b64 exec, exec, s[14:15]
	s_and_b64 s[10:11], s[10:11], s[8:9]
	s_and_saveexec_b64 s[12:13], s[10:11]
	s_cbranch_execnz .LBB36_275
	s_branch .LBB36_278
.LBB36_266:
	v_mad_u64_u32 v[2:3], s[12:13], v4, s40, v[0:1]
	v_mov_b32_e32 v3, 0
	v_lshlrev_b64 v[2:3], 2, v[2:3]
	v_mov_b32_e32 v1, s45
	v_add_co_u32_e64 v2, s[12:13], s44, v2
	s_and_b64 vcc, exec, s[0:1]
	v_addc_co_u32_e64 v3, s[12:13], v1, v3, s[12:13]
	s_cbranch_vccnz .LBB36_268
; %bb.267:
	global_load_dword v1, v[2:3], off
	s_waitcnt vmcnt(0)
	v_add_f32_e32 v72, v72, v1
.LBB36_268:
	global_store_dword v[2:3], v72, off
	s_or_b64 exec, exec, s[14:15]
	s_and_b64 s[12:13], s[10:11], s[4:5]
	s_and_saveexec_b64 s[14:15], s[12:13]
	s_cbranch_execz .LBB36_264
.LBB36_269:
	v_mad_u64_u32 v[2:3], s[12:13], v6, s40, v[0:1]
	v_mov_b32_e32 v3, 0
	v_lshlrev_b64 v[2:3], 2, v[2:3]
	v_mov_b32_e32 v1, s45
	v_add_co_u32_e64 v2, s[12:13], s44, v2
	s_and_b64 vcc, exec, s[0:1]
	v_addc_co_u32_e64 v3, s[12:13], v1, v3, s[12:13]
	s_cbranch_vccnz .LBB36_271
; %bb.270:
	global_load_dword v1, v[2:3], off
	s_waitcnt vmcnt(0)
	v_add_f32_e32 v73, v73, v1
.LBB36_271:
	global_store_dword v[2:3], v73, off
	s_or_b64 exec, exec, s[14:15]
	s_and_b64 s[12:13], s[10:11], s[6:7]
	s_and_saveexec_b64 s[14:15], s[12:13]
	s_cbranch_execz .LBB36_265
.LBB36_272:
	v_mad_u64_u32 v[2:3], s[12:13], v7, s40, v[0:1]
	v_mov_b32_e32 v3, 0
	v_lshlrev_b64 v[2:3], 2, v[2:3]
	v_mov_b32_e32 v1, s45
	v_add_co_u32_e64 v2, s[12:13], s44, v2
	s_and_b64 vcc, exec, s[0:1]
	v_addc_co_u32_e64 v3, s[12:13], v1, v3, s[12:13]
	s_cbranch_vccnz .LBB36_274
; %bb.273:
	global_load_dword v1, v[2:3], off
	s_waitcnt vmcnt(0)
	v_add_f32_e32 v34, v34, v1
.LBB36_274:
	global_store_dword v[2:3], v34, off
	s_or_b64 exec, exec, s[14:15]
	s_and_b64 s[10:11], s[10:11], s[8:9]
	s_and_saveexec_b64 s[12:13], s[10:11]
	s_cbranch_execz .LBB36_278
.LBB36_275:
	v_mad_u64_u32 v[0:1], s[10:11], v8, s40, v[0:1]
	v_mov_b32_e32 v1, 0
	v_lshlrev_b64 v[0:1], 2, v[0:1]
	v_mov_b32_e32 v2, s45
	v_add_co_u32_e64 v0, s[10:11], s44, v0
	s_and_b64 vcc, exec, s[0:1]
	v_addc_co_u32_e64 v1, s[10:11], v2, v1, s[10:11]
	s_cbranch_vccnz .LBB36_277
; %bb.276:
	global_load_dword v2, v[0:1], off
	s_waitcnt vmcnt(0)
	v_add_f32_e32 v35, v35, v2
.LBB36_277:
	global_store_dword v[0:1], v35, off
.LBB36_278:
	s_or_b64 exec, exec, s[12:13]
	v_or_b32_e32 v0, 3, v5
	v_cmp_gt_u32_e64 s[10:11], s40, v0
	v_add_u32_e32 v0, s16, v0
	s_and_b64 s[2:3], s[10:11], s[2:3]
	s_and_saveexec_b64 s[12:13], s[2:3]
	s_cbranch_execnz .LBB36_283
; %bb.279:
	s_or_b64 exec, exec, s[12:13]
	s_and_b64 s[2:3], s[10:11], s[4:5]
	s_and_saveexec_b64 s[4:5], s[2:3]
	s_cbranch_execnz .LBB36_286
.LBB36_280:
	s_or_b64 exec, exec, s[4:5]
	s_and_b64 s[2:3], s[10:11], s[6:7]
	s_and_saveexec_b64 s[4:5], s[2:3]
	s_cbranch_execnz .LBB36_289
.LBB36_281:
	s_or_b64 exec, exec, s[4:5]
	s_and_b64 s[2:3], s[10:11], s[8:9]
	s_and_saveexec_b64 s[4:5], s[2:3]
	s_cbranch_execnz .LBB36_292
.LBB36_282:
	s_endpgm
.LBB36_283:
	v_mad_u64_u32 v[2:3], s[2:3], v4, s40, v[0:1]
	v_mov_b32_e32 v3, 0
	v_lshlrev_b64 v[2:3], 2, v[2:3]
	v_mov_b32_e32 v1, s45
	v_add_co_u32_e64 v2, s[2:3], s44, v2
	s_and_b64 vcc, exec, s[0:1]
	v_addc_co_u32_e64 v3, s[2:3], v1, v3, s[2:3]
	s_cbranch_vccnz .LBB36_285
; %bb.284:
	global_load_dword v1, v[2:3], off
	s_waitcnt vmcnt(0)
	v_add_f32_e32 v30, v30, v1
.LBB36_285:
	global_store_dword v[2:3], v30, off
	s_or_b64 exec, exec, s[12:13]
	s_and_b64 s[2:3], s[10:11], s[4:5]
	s_and_saveexec_b64 s[4:5], s[2:3]
	s_cbranch_execz .LBB36_280
.LBB36_286:
	v_mad_u64_u32 v[2:3], s[2:3], v6, s40, v[0:1]
	v_mov_b32_e32 v3, 0
	v_lshlrev_b64 v[2:3], 2, v[2:3]
	v_mov_b32_e32 v1, s45
	v_add_co_u32_e64 v2, s[2:3], s44, v2
	s_and_b64 vcc, exec, s[0:1]
	v_addc_co_u32_e64 v3, s[2:3], v1, v3, s[2:3]
	s_cbranch_vccnz .LBB36_288
; %bb.287:
	global_load_dword v1, v[2:3], off
	s_waitcnt vmcnt(0)
	v_add_f32_e32 v31, v31, v1
.LBB36_288:
	global_store_dword v[2:3], v31, off
	s_or_b64 exec, exec, s[4:5]
	s_and_b64 s[2:3], s[10:11], s[6:7]
	s_and_saveexec_b64 s[4:5], s[2:3]
	s_cbranch_execz .LBB36_281
.LBB36_289:
	v_mad_u64_u32 v[2:3], s[2:3], v7, s40, v[0:1]
	v_mov_b32_e32 v3, 0
	v_lshlrev_b64 v[2:3], 2, v[2:3]
	v_mov_b32_e32 v1, s45
	v_add_co_u32_e64 v2, s[2:3], s44, v2
	s_and_b64 vcc, exec, s[0:1]
	v_addc_co_u32_e64 v3, s[2:3], v1, v3, s[2:3]
	s_cbranch_vccnz .LBB36_291
; %bb.290:
	global_load_dword v1, v[2:3], off
	s_waitcnt vmcnt(0)
	v_add_f32_e32 v28, v28, v1
.LBB36_291:
	global_store_dword v[2:3], v28, off
	s_or_b64 exec, exec, s[4:5]
	s_and_b64 s[2:3], s[10:11], s[8:9]
	s_and_saveexec_b64 s[4:5], s[2:3]
	s_cbranch_execz .LBB36_282
.LBB36_292:
	v_mad_u64_u32 v[0:1], s[2:3], v8, s40, v[0:1]
	v_mov_b32_e32 v1, 0
	v_lshlrev_b64 v[0:1], 2, v[0:1]
	v_mov_b32_e32 v2, s45
	s_and_b64 vcc, exec, s[0:1]
	v_add_co_u32_e64 v0, s[0:1], s44, v0
	v_addc_co_u32_e64 v1, s[0:1], v2, v1, s[0:1]
	s_cbranch_vccnz .LBB36_294
; %bb.293:
	global_load_dword v2, v[0:1], off
	s_waitcnt vmcnt(0)
	v_add_f32_e32 v29, v29, v2
.LBB36_294:
	global_store_dword v[0:1], v29, off
	s_endpgm
	.section	.rodata,"a",@progbits
	.p2align	6, 0x0
	.amdhsa_kernel gemm_q5k_tiled_v2
		.amdhsa_group_segment_fixed_size 16384
		.amdhsa_private_segment_fixed_size 0
		.amdhsa_kernarg_size 52
		.amdhsa_user_sgpr_count 6
		.amdhsa_user_sgpr_private_segment_buffer 1
		.amdhsa_user_sgpr_dispatch_ptr 0
		.amdhsa_user_sgpr_queue_ptr 0
		.amdhsa_user_sgpr_kernarg_segment_ptr 1
		.amdhsa_user_sgpr_dispatch_id 0
		.amdhsa_user_sgpr_flat_scratch_init 0
		.amdhsa_user_sgpr_kernarg_preload_length 0
		.amdhsa_user_sgpr_kernarg_preload_offset 0
		.amdhsa_user_sgpr_private_segment_size 0
		.amdhsa_uses_dynamic_stack 0
		.amdhsa_system_sgpr_private_segment_wavefront_offset 0
		.amdhsa_system_sgpr_workgroup_id_x 1
		.amdhsa_system_sgpr_workgroup_id_y 1
		.amdhsa_system_sgpr_workgroup_id_z 0
		.amdhsa_system_sgpr_workgroup_info 0
		.amdhsa_system_vgpr_workitem_id 0
		.amdhsa_next_free_vgpr 114
		.amdhsa_next_free_sgpr 66
		.amdhsa_accum_offset 116
		.amdhsa_reserve_vcc 1
		.amdhsa_reserve_flat_scratch 0
		.amdhsa_float_round_mode_32 0
		.amdhsa_float_round_mode_16_64 0
		.amdhsa_float_denorm_mode_32 3
		.amdhsa_float_denorm_mode_16_64 3
		.amdhsa_dx10_clamp 1
		.amdhsa_ieee_mode 1
		.amdhsa_fp16_overflow 0
		.amdhsa_tg_split 0
		.amdhsa_exception_fp_ieee_invalid_op 0
		.amdhsa_exception_fp_denorm_src 0
		.amdhsa_exception_fp_ieee_div_zero 0
		.amdhsa_exception_fp_ieee_overflow 0
		.amdhsa_exception_fp_ieee_underflow 0
		.amdhsa_exception_fp_ieee_inexact 0
		.amdhsa_exception_int_div_zero 0
	.end_amdhsa_kernel
	.text
.Lfunc_end36:
	.size	gemm_q5k_tiled_v2, .Lfunc_end36-gemm_q5k_tiled_v2
                                        ; -- End function
	.section	.AMDGPU.csdata,"",@progbits
; Kernel info:
; codeLenInByte = 11656
; NumSgprs: 70
; NumVgprs: 114
; NumAgprs: 0
; TotalNumVgprs: 114
; ScratchSize: 0
; MemoryBound: 0
; FloatMode: 240
; IeeeMode: 1
; LDSByteSize: 16384 bytes/workgroup (compile time only)
; SGPRBlocks: 8
; VGPRBlocks: 14
; NumSGPRsForWavesPerEU: 70
; NumVGPRsForWavesPerEU: 114
; AccumOffset: 116
; Occupancy: 4
; WaveLimiterHint : 0
; COMPUTE_PGM_RSRC2:SCRATCH_EN: 0
; COMPUTE_PGM_RSRC2:USER_SGPR: 6
; COMPUTE_PGM_RSRC2:TRAP_HANDLER: 0
; COMPUTE_PGM_RSRC2:TGID_X_EN: 1
; COMPUTE_PGM_RSRC2:TGID_Y_EN: 1
; COMPUTE_PGM_RSRC2:TGID_Z_EN: 0
; COMPUTE_PGM_RSRC2:TIDIG_COMP_CNT: 0
; COMPUTE_PGM_RSRC3_GFX90A:ACCUM_OFFSET: 28
; COMPUTE_PGM_RSRC3_GFX90A:TG_SPLIT: 0
	.text
	.protected	sigmoid_mul             ; -- Begin function sigmoid_mul
	.globl	sigmoid_mul
	.p2align	8
	.type	sigmoid_mul,@function
sigmoid_mul:                            ; @sigmoid_mul
; %bb.0:
	s_load_dword s0, s[4:5], 0x2c
	s_load_dword s1, s[4:5], 0x18
	s_waitcnt lgkmcnt(0)
	s_and_b32 s0, s0, 0xffff
	s_mul_i32 s6, s6, s0
	v_add_u32_e32 v0, s6, v0
	v_cmp_gt_u32_e32 vcc, s1, v0
	s_and_saveexec_b64 s[0:1], vcc
	s_cbranch_execz .LBB37_2
; %bb.1:
	s_load_dwordx4 s[0:3], s[4:5], 0x0
	s_load_dwordx2 s[6:7], s[4:5], 0x10
	v_mov_b32_e32 v1, 0
	v_lshlrev_b64 v[0:1], 2, v[0:1]
	s_waitcnt lgkmcnt(0)
	v_mov_b32_e32 v3, s3
	v_add_co_u32_e32 v2, vcc, s2, v0
	v_addc_co_u32_e32 v3, vcc, v3, v1, vcc
	global_load_dword v4, v[2:3], off
	v_mov_b32_e32 v3, s1
	v_add_co_u32_e32 v2, vcc, s0, v0
	v_addc_co_u32_e32 v3, vcc, v3, v1, vcc
	global_load_dword v2, v[2:3], off
	s_mov_b32 s0, 0xbfb8aa3b
	s_mov_b32 s1, 0xc2b17218
	s_waitcnt vmcnt(1)
	v_mul_f32_e32 v3, 0xbfb8aa3b, v4
	v_fma_f32 v5, v4, s0, -v3
	v_rndne_f32_e32 v6, v3
	v_fmac_f32_e32 v5, 0xb2a5705f, v4
	v_sub_f32_e32 v3, v3, v6
	v_add_f32_e32 v3, v3, v5
	v_cvt_i32_f32_e32 v6, v6
	v_exp_f32_e32 v3, v3
	s_mov_b32 s0, 0x42ce8ed0
	v_cmp_nlt_f32_e32 vcc, s0, v4
	v_mov_b32_e32 v5, 0x7f800000
	v_ldexp_f32 v3, v3, v6
	v_cndmask_b32_e32 v3, 0, v3, vcc
	v_cmp_ngt_f32_e32 vcc, s1, v4
	v_cndmask_b32_e32 v3, v5, v3, vcc
	v_add_f32_e32 v3, 1.0, v3
	v_div_scale_f32 v4, s[0:1], v3, v3, 1.0
	v_rcp_f32_e32 v5, v4
	v_div_scale_f32 v7, vcc, 1.0, v3, 1.0
	v_mov_b32_e32 v6, s7
	v_fma_f32 v8, -v4, v5, 1.0
	v_fmac_f32_e32 v5, v8, v5
	v_mul_f32_e32 v8, v7, v5
	v_fma_f32 v9, -v4, v8, v7
	v_fmac_f32_e32 v8, v9, v5
	v_fma_f32 v4, -v4, v8, v7
	v_div_fmas_f32 v4, v4, v5, v8
	v_div_fixup_f32 v3, v4, v3, 1.0
	v_add_co_u32_e32 v0, vcc, s6, v0
	s_waitcnt vmcnt(0)
	v_mul_f32_e32 v2, v2, v3
	v_addc_co_u32_e32 v1, vcc, v6, v1, vcc
	global_store_dword v[0:1], v2, off
.LBB37_2:
	s_endpgm
	.section	.rodata,"a",@progbits
	.p2align	6, 0x0
	.amdhsa_kernel sigmoid_mul
		.amdhsa_group_segment_fixed_size 0
		.amdhsa_private_segment_fixed_size 0
		.amdhsa_kernarg_size 288
		.amdhsa_user_sgpr_count 6
		.amdhsa_user_sgpr_private_segment_buffer 1
		.amdhsa_user_sgpr_dispatch_ptr 0
		.amdhsa_user_sgpr_queue_ptr 0
		.amdhsa_user_sgpr_kernarg_segment_ptr 1
		.amdhsa_user_sgpr_dispatch_id 0
		.amdhsa_user_sgpr_flat_scratch_init 0
		.amdhsa_user_sgpr_kernarg_preload_length 0
		.amdhsa_user_sgpr_kernarg_preload_offset 0
		.amdhsa_user_sgpr_private_segment_size 0
		.amdhsa_uses_dynamic_stack 0
		.amdhsa_system_sgpr_private_segment_wavefront_offset 0
		.amdhsa_system_sgpr_workgroup_id_x 1
		.amdhsa_system_sgpr_workgroup_id_y 0
		.amdhsa_system_sgpr_workgroup_id_z 0
		.amdhsa_system_sgpr_workgroup_info 0
		.amdhsa_system_vgpr_workitem_id 0
		.amdhsa_next_free_vgpr 10
		.amdhsa_next_free_sgpr 8
		.amdhsa_accum_offset 12
		.amdhsa_reserve_vcc 1
		.amdhsa_reserve_flat_scratch 0
		.amdhsa_float_round_mode_32 0
		.amdhsa_float_round_mode_16_64 0
		.amdhsa_float_denorm_mode_32 3
		.amdhsa_float_denorm_mode_16_64 3
		.amdhsa_dx10_clamp 1
		.amdhsa_ieee_mode 1
		.amdhsa_fp16_overflow 0
		.amdhsa_tg_split 0
		.amdhsa_exception_fp_ieee_invalid_op 0
		.amdhsa_exception_fp_denorm_src 0
		.amdhsa_exception_fp_ieee_div_zero 0
		.amdhsa_exception_fp_ieee_overflow 0
		.amdhsa_exception_fp_ieee_underflow 0
		.amdhsa_exception_fp_ieee_inexact 0
		.amdhsa_exception_int_div_zero 0
	.end_amdhsa_kernel
	.text
.Lfunc_end37:
	.size	sigmoid_mul, .Lfunc_end37-sigmoid_mul
                                        ; -- End function
	.section	.AMDGPU.csdata,"",@progbits
; Kernel info:
; codeLenInByte = 332
; NumSgprs: 12
; NumVgprs: 10
; NumAgprs: 0
; TotalNumVgprs: 10
; ScratchSize: 0
; MemoryBound: 0
; FloatMode: 240
; IeeeMode: 1
; LDSByteSize: 0 bytes/workgroup (compile time only)
; SGPRBlocks: 1
; VGPRBlocks: 1
; NumSGPRsForWavesPerEU: 12
; NumVGPRsForWavesPerEU: 10
; AccumOffset: 12
; Occupancy: 8
; WaveLimiterHint : 0
; COMPUTE_PGM_RSRC2:SCRATCH_EN: 0
; COMPUTE_PGM_RSRC2:USER_SGPR: 6
; COMPUTE_PGM_RSRC2:TRAP_HANDLER: 0
; COMPUTE_PGM_RSRC2:TGID_X_EN: 1
; COMPUTE_PGM_RSRC2:TGID_Y_EN: 0
; COMPUTE_PGM_RSRC2:TGID_Z_EN: 0
; COMPUTE_PGM_RSRC2:TIDIG_COMP_CNT: 0
; COMPUTE_PGM_RSRC3_GFX90A:ACCUM_OFFSET: 2
; COMPUTE_PGM_RSRC3_GFX90A:TG_SPLIT: 0
	.text
	.protected	rms_norm_noweight       ; -- Begin function rms_norm_noweight
	.globl	rms_norm_noweight
	.p2align	8
	.type	rms_norm_noweight,@function
rms_norm_noweight:                      ; @rms_norm_noweight
; %bb.0:
	s_load_dwordx2 s[8:9], s[4:5], 0x10
	s_load_dwordx4 s[0:3], s[4:5], 0x0
	v_mov_b32_e32 v4, 0
	s_waitcnt lgkmcnt(0)
	s_mul_hi_u32 s7, s8, s6
	s_mul_i32 s6, s8, s6
	s_lshl_b64 s[6:7], s[6:7], 2
	s_add_u32 s14, s0, s6
	s_addc_u32 s15, s1, s7
	v_cmp_gt_u32_e64 s[0:1], s8, v0
	s_and_saveexec_b64 s[10:11], s[0:1]
	s_cbranch_execz .LBB38_4
; %bb.1:
	s_load_dword s16, s[4:5], 0x24
	s_mov_b64 s[12:13], 0
	v_mov_b32_e32 v3, 0
	v_mov_b32_e32 v1, s15
	;; [unrolled: 1-line block ×3, first 2 shown]
	s_waitcnt lgkmcnt(0)
	s_and_b32 s16, s16, 0xffff
	v_mov_b32_e32 v2, v0
.LBB38_2:                               ; =>This Inner Loop Header: Depth=1
	v_lshlrev_b64 v[6:7], 2, v[2:3]
	v_add_co_u32_e32 v6, vcc, s14, v6
	v_addc_co_u32_e32 v7, vcc, v1, v7, vcc
	global_load_dword v5, v[6:7], off
	v_add_u32_e32 v2, s16, v2
	v_cmp_le_u32_e32 vcc, s8, v2
	s_or_b64 s[12:13], vcc, s[12:13]
	s_waitcnt vmcnt(0)
	v_fmac_f32_e32 v4, v5, v5
	s_andn2_b64 exec, exec, s[12:13]
	s_cbranch_execnz .LBB38_2
; %bb.3:
	s_or_b64 exec, exec, s[12:13]
.LBB38_4:
	s_or_b64 exec, exec, s[10:11]
	v_mbcnt_lo_u32_b32 v1, -1, 0
	v_mbcnt_hi_u32_b32 v6, -1, v1
	v_and_b32_e32 v7, 63, v6
	v_cmp_gt_u32_e32 vcc, 48, v7
	v_cndmask_b32_e64 v1, 0, 1, vcc
	v_lshlrev_b32_e32 v1, 4, v1
	v_add_lshl_u32 v1, v1, v6, 2
	ds_bpermute_b32 v2, v1, v4
	v_cmp_gt_u32_e32 vcc, 56, v7
	v_cndmask_b32_e64 v3, 0, 1, vcc
	v_lshlrev_b32_e32 v3, 3, v3
	v_cmp_gt_u32_e32 vcc, 60, v7
	s_waitcnt lgkmcnt(0)
	v_add_f32_e32 v4, v4, v2
	v_add_lshl_u32 v2, v3, v6, 2
	ds_bpermute_b32 v3, v2, v4
	v_cndmask_b32_e64 v5, 0, 1, vcc
	v_lshlrev_b32_e32 v5, 2, v5
	v_cmp_gt_u32_e32 vcc, 62, v7
	v_cndmask_b32_e64 v8, 0, 1, vcc
	s_waitcnt lgkmcnt(0)
	v_add_f32_e32 v4, v4, v3
	v_add_lshl_u32 v3, v5, v6, 2
	ds_bpermute_b32 v5, v3, v4
	v_lshlrev_b32_e32 v8, 1, v8
	v_cmp_ne_u32_e32 vcc, 63, v7
	v_and_b32_e32 v7, 31, v0
	s_waitcnt lgkmcnt(0)
	v_add_f32_e32 v4, v4, v5
	v_add_lshl_u32 v5, v8, v6, 2
	ds_bpermute_b32 v8, v5, v4
	v_addc_co_u32_e32 v6, vcc, 0, v6, vcc
	v_lshlrev_b32_e32 v6, 2, v6
	v_cmp_eq_u32_e32 vcc, 0, v7
	s_waitcnt lgkmcnt(0)
	v_add_f32_e32 v4, v4, v8
	ds_bpermute_b32 v8, v6, v4
	s_and_saveexec_b64 s[10:11], vcc
	s_cbranch_execz .LBB38_6
; %bb.5:
	s_waitcnt lgkmcnt(0)
	v_add_f32_e32 v4, v4, v8
	v_lshrrev_b32_e32 v8, 3, v0
	ds_write_b32 v8, v4
.LBB38_6:
	s_or_b64 exec, exec, s[10:11]
	s_waitcnt lgkmcnt(0)
	s_barrier
	s_load_dword s4, s[4:5], 0x24
	v_mov_b32_e32 v4, 0
	s_waitcnt lgkmcnt(0)
	s_and_b32 s10, s4, 0xffff
	s_add_i32 s4, s10, 31
	s_lshr_b32 s4, s4, 5
	v_cmp_gt_u32_e32 vcc, s4, v0
	s_and_saveexec_b64 s[4:5], vcc
	s_cbranch_execnz .LBB38_14
; %bb.7:
	s_or_b64 exec, exec, s[4:5]
	v_cmp_gt_u32_e32 vcc, 32, v0
	s_and_saveexec_b64 s[4:5], vcc
	s_cbranch_execnz .LBB38_15
.LBB38_8:
	s_or_b64 exec, exec, s[4:5]
	v_cmp_eq_u32_e32 vcc, 0, v0
	s_and_saveexec_b64 s[4:5], vcc
	s_cbranch_execz .LBB38_10
.LBB38_9:
	v_cvt_f32_u32_e32 v1, s8
	s_mov_b32 s11, 0x800000
	s_waitcnt lgkmcnt(0)
	v_div_scale_f32 v2, s[12:13], v1, v1, v4
	v_rcp_f32_e32 v3, v2
	v_div_scale_f32 v5, vcc, v4, v1, v4
	v_fma_f32 v6, -v2, v3, 1.0
	v_fmac_f32_e32 v3, v6, v3
	v_mul_f32_e32 v6, v5, v3
	v_fma_f32 v7, -v2, v6, v5
	v_fmac_f32_e32 v6, v7, v3
	v_fma_f32 v2, -v2, v6, v5
	v_div_fmas_f32 v2, v2, v3, v6
	v_div_fixup_f32 v1, v2, v1, v4
	v_add_f32_e32 v1, s9, v1
	v_mul_f32_e32 v2, 0x4b800000, v1
	v_cmp_gt_f32_e32 vcc, s11, v1
	v_cndmask_b32_e32 v1, v1, v2, vcc
	v_rsq_f32_e32 v1, v1
	v_mul_f32_e32 v2, 0x45800000, v1
	v_cndmask_b32_e32 v1, v1, v2, vcc
	v_mov_b32_e32 v2, 0
	ds_write_b32 v2, v1 offset:128
.LBB38_10:
	s_or_b64 exec, exec, s[4:5]
	s_waitcnt lgkmcnt(0)
	s_barrier
	s_and_saveexec_b64 s[4:5], s[0:1]
	s_cbranch_execz .LBB38_13
; %bb.11:
	v_mov_b32_e32 v1, 0
	ds_read_b32 v2, v1 offset:128
	s_add_u32 s2, s2, s6
	s_addc_u32 s3, s3, s7
	s_mov_b64 s[0:1], 0
	v_mov_b32_e32 v3, s15
	v_mov_b32_e32 v4, s3
.LBB38_12:                              ; =>This Inner Loop Header: Depth=1
	v_lshlrev_b64 v[6:7], 2, v[0:1]
	v_add_co_u32_e32 v8, vcc, s14, v6
	v_addc_co_u32_e32 v9, vcc, v3, v7, vcc
	global_load_dword v5, v[8:9], off
	v_add_co_u32_e32 v6, vcc, s2, v6
	v_add_u32_e32 v0, s10, v0
	v_addc_co_u32_e32 v7, vcc, v4, v7, vcc
	v_cmp_le_u32_e32 vcc, s8, v0
	s_or_b64 s[0:1], vcc, s[0:1]
	s_waitcnt vmcnt(0) lgkmcnt(0)
	v_mul_f32_e32 v5, v2, v5
	global_store_dword v[6:7], v5, off
	s_andn2_b64 exec, exec, s[0:1]
	s_cbranch_execnz .LBB38_12
.LBB38_13:
	s_endpgm
.LBB38_14:
	v_lshlrev_b32_e32 v4, 2, v7
	ds_read_b32 v4, v4
	s_or_b64 exec, exec, s[4:5]
	v_cmp_gt_u32_e32 vcc, 32, v0
	s_and_saveexec_b64 s[4:5], vcc
	s_cbranch_execz .LBB38_8
.LBB38_15:
	s_waitcnt lgkmcnt(0)
	ds_bpermute_b32 v1, v1, v4
	s_waitcnt lgkmcnt(0)
	v_add_f32_e32 v1, v4, v1
	ds_bpermute_b32 v2, v2, v1
	s_waitcnt lgkmcnt(0)
	v_add_f32_e32 v1, v1, v2
	;; [unrolled: 3-line block ×5, first 2 shown]
	s_or_b64 exec, exec, s[4:5]
	v_cmp_eq_u32_e32 vcc, 0, v0
	s_and_saveexec_b64 s[4:5], vcc
	s_cbranch_execnz .LBB38_9
	s_branch .LBB38_10
	.section	.rodata,"a",@progbits
	.p2align	6, 0x0
	.amdhsa_kernel rms_norm_noweight
		.amdhsa_group_segment_fixed_size 132
		.amdhsa_private_segment_fixed_size 0
		.amdhsa_kernarg_size 280
		.amdhsa_user_sgpr_count 6
		.amdhsa_user_sgpr_private_segment_buffer 1
		.amdhsa_user_sgpr_dispatch_ptr 0
		.amdhsa_user_sgpr_queue_ptr 0
		.amdhsa_user_sgpr_kernarg_segment_ptr 1
		.amdhsa_user_sgpr_dispatch_id 0
		.amdhsa_user_sgpr_flat_scratch_init 0
		.amdhsa_user_sgpr_kernarg_preload_length 0
		.amdhsa_user_sgpr_kernarg_preload_offset 0
		.amdhsa_user_sgpr_private_segment_size 0
		.amdhsa_uses_dynamic_stack 0
		.amdhsa_system_sgpr_private_segment_wavefront_offset 0
		.amdhsa_system_sgpr_workgroup_id_x 1
		.amdhsa_system_sgpr_workgroup_id_y 0
		.amdhsa_system_sgpr_workgroup_id_z 0
		.amdhsa_system_sgpr_workgroup_info 0
		.amdhsa_system_vgpr_workitem_id 0
		.amdhsa_next_free_vgpr 10
		.amdhsa_next_free_sgpr 17
		.amdhsa_accum_offset 12
		.amdhsa_reserve_vcc 1
		.amdhsa_reserve_flat_scratch 0
		.amdhsa_float_round_mode_32 0
		.amdhsa_float_round_mode_16_64 0
		.amdhsa_float_denorm_mode_32 3
		.amdhsa_float_denorm_mode_16_64 3
		.amdhsa_dx10_clamp 1
		.amdhsa_ieee_mode 1
		.amdhsa_fp16_overflow 0
		.amdhsa_tg_split 0
		.amdhsa_exception_fp_ieee_invalid_op 0
		.amdhsa_exception_fp_denorm_src 0
		.amdhsa_exception_fp_ieee_div_zero 0
		.amdhsa_exception_fp_ieee_overflow 0
		.amdhsa_exception_fp_ieee_underflow 0
		.amdhsa_exception_fp_ieee_inexact 0
		.amdhsa_exception_int_div_zero 0
	.end_amdhsa_kernel
	.text
.Lfunc_end38:
	.size	rms_norm_noweight, .Lfunc_end38-rms_norm_noweight
                                        ; -- End function
	.section	.AMDGPU.csdata,"",@progbits
; Kernel info:
; codeLenInByte = 876
; NumSgprs: 21
; NumVgprs: 10
; NumAgprs: 0
; TotalNumVgprs: 10
; ScratchSize: 0
; MemoryBound: 0
; FloatMode: 240
; IeeeMode: 1
; LDSByteSize: 132 bytes/workgroup (compile time only)
; SGPRBlocks: 2
; VGPRBlocks: 1
; NumSGPRsForWavesPerEU: 21
; NumVGPRsForWavesPerEU: 10
; AccumOffset: 12
; Occupancy: 8
; WaveLimiterHint : 0
; COMPUTE_PGM_RSRC2:SCRATCH_EN: 0
; COMPUTE_PGM_RSRC2:USER_SGPR: 6
; COMPUTE_PGM_RSRC2:TRAP_HANDLER: 0
; COMPUTE_PGM_RSRC2:TGID_X_EN: 1
; COMPUTE_PGM_RSRC2:TGID_Y_EN: 0
; COMPUTE_PGM_RSRC2:TGID_Z_EN: 0
; COMPUTE_PGM_RSRC2:TIDIG_COMP_CNT: 0
; COMPUTE_PGM_RSRC3_GFX90A:ACCUM_OFFSET: 2
; COMPUTE_PGM_RSRC3_GFX90A:TG_SPLIT: 0
	.text
	.protected	rms_norm_kvwrite        ; -- Begin function rms_norm_kvwrite
	.globl	rms_norm_kvwrite
	.p2align	8
	.type	rms_norm_kvwrite,@function
rms_norm_kvwrite:                       ; @rms_norm_kvwrite
; %bb.0:
	s_load_dwordx8 s[8:15], s[4:5], 0x0
	v_mov_b32_e32 v4, 0
	s_waitcnt lgkmcnt(0)
	s_mul_hi_u32 s3, s12, s6
	s_mul_i32 s2, s12, s6
	s_lshl_b64 s[2:3], s[2:3], 2
	s_add_u32 s16, s8, s2
	v_cmp_gt_u32_e64 s[0:1], s12, v0
	s_addc_u32 s17, s9, s3
	s_and_saveexec_b64 s[6:7], s[0:1]
	s_cbranch_execz .LBB39_4
; %bb.1:
	s_load_dword s15, s[4:5], 0x2c
	s_mov_b64 s[8:9], 0
	v_mov_b32_e32 v3, 0
	v_mov_b32_e32 v1, s17
	;; [unrolled: 1-line block ×3, first 2 shown]
	s_waitcnt lgkmcnt(0)
	s_and_b32 s15, s15, 0xffff
	v_mov_b32_e32 v2, v0
.LBB39_2:                               ; =>This Inner Loop Header: Depth=1
	v_lshlrev_b64 v[6:7], 2, v[2:3]
	v_add_co_u32_e32 v6, vcc, s16, v6
	v_addc_co_u32_e32 v7, vcc, v1, v7, vcc
	global_load_dword v5, v[6:7], off
	v_add_u32_e32 v2, s15, v2
	v_cmp_le_u32_e32 vcc, s12, v2
	s_or_b64 s[8:9], vcc, s[8:9]
	s_waitcnt vmcnt(0)
	v_fmac_f32_e32 v4, v5, v5
	s_andn2_b64 exec, exec, s[8:9]
	s_cbranch_execnz .LBB39_2
; %bb.3:
	s_or_b64 exec, exec, s[8:9]
.LBB39_4:
	s_or_b64 exec, exec, s[6:7]
	v_mbcnt_lo_u32_b32 v1, -1, 0
	v_mbcnt_hi_u32_b32 v6, -1, v1
	v_and_b32_e32 v7, 63, v6
	v_cmp_gt_u32_e32 vcc, 48, v7
	v_cndmask_b32_e64 v1, 0, 1, vcc
	v_lshlrev_b32_e32 v1, 4, v1
	v_add_lshl_u32 v1, v1, v6, 2
	ds_bpermute_b32 v2, v1, v4
	v_cmp_gt_u32_e32 vcc, 56, v7
	v_cndmask_b32_e64 v3, 0, 1, vcc
	v_lshlrev_b32_e32 v3, 3, v3
	v_cmp_gt_u32_e32 vcc, 60, v7
	s_waitcnt lgkmcnt(0)
	v_add_f32_e32 v4, v4, v2
	v_add_lshl_u32 v2, v3, v6, 2
	ds_bpermute_b32 v3, v2, v4
	v_cndmask_b32_e64 v5, 0, 1, vcc
	v_lshlrev_b32_e32 v5, 2, v5
	v_cmp_gt_u32_e32 vcc, 62, v7
	v_cndmask_b32_e64 v8, 0, 1, vcc
	s_waitcnt lgkmcnt(0)
	v_add_f32_e32 v4, v4, v3
	v_add_lshl_u32 v3, v5, v6, 2
	ds_bpermute_b32 v5, v3, v4
	v_lshlrev_b32_e32 v8, 1, v8
	v_cmp_ne_u32_e32 vcc, 63, v7
	v_and_b32_e32 v7, 31, v0
	s_waitcnt lgkmcnt(0)
	v_add_f32_e32 v4, v4, v5
	v_add_lshl_u32 v5, v8, v6, 2
	ds_bpermute_b32 v8, v5, v4
	v_addc_co_u32_e32 v6, vcc, 0, v6, vcc
	v_lshlrev_b32_e32 v6, 2, v6
	v_cmp_eq_u32_e32 vcc, 0, v7
	s_waitcnt lgkmcnt(0)
	v_add_f32_e32 v4, v4, v8
	ds_bpermute_b32 v8, v6, v4
	s_and_saveexec_b64 s[6:7], vcc
	s_cbranch_execz .LBB39_6
; %bb.5:
	s_waitcnt lgkmcnt(0)
	v_add_f32_e32 v4, v4, v8
	v_lshrrev_b32_e32 v8, 3, v0
	ds_write_b32 v8, v4
.LBB39_6:
	s_or_b64 exec, exec, s[6:7]
	s_waitcnt lgkmcnt(0)
	s_barrier
	s_load_dword s4, s[4:5], 0x2c
	v_mov_b32_e32 v4, 0
	s_waitcnt lgkmcnt(0)
	s_and_b32 s6, s4, 0xffff
	s_add_i32 s4, s6, 31
	s_lshr_b32 s4, s4, 5
	v_cmp_gt_u32_e32 vcc, s4, v0
	s_and_saveexec_b64 s[4:5], vcc
	s_cbranch_execnz .LBB39_14
; %bb.7:
	s_or_b64 exec, exec, s[4:5]
	v_cmp_gt_u32_e32 vcc, 32, v0
	s_and_saveexec_b64 s[4:5], vcc
	s_cbranch_execnz .LBB39_15
.LBB39_8:
	s_or_b64 exec, exec, s[4:5]
	v_cmp_eq_u32_e32 vcc, 0, v0
	s_and_saveexec_b64 s[4:5], vcc
	s_cbranch_execz .LBB39_10
.LBB39_9:
	v_cvt_f32_u32_e32 v1, s12
	s_mov_b32 s7, 0x800000
	s_waitcnt lgkmcnt(0)
	v_div_scale_f32 v2, s[8:9], v1, v1, v4
	v_rcp_f32_e32 v3, v2
	v_div_scale_f32 v5, vcc, v4, v1, v4
	v_fma_f32 v6, -v2, v3, 1.0
	v_fmac_f32_e32 v3, v6, v3
	v_mul_f32_e32 v6, v5, v3
	v_fma_f32 v7, -v2, v6, v5
	v_fmac_f32_e32 v6, v7, v3
	v_fma_f32 v2, -v2, v6, v5
	v_div_fmas_f32 v2, v2, v3, v6
	v_div_fixup_f32 v1, v2, v1, v4
	v_add_f32_e32 v1, s13, v1
	v_mul_f32_e32 v2, 0x4b800000, v1
	v_cmp_gt_f32_e32 vcc, s7, v1
	v_cndmask_b32_e32 v1, v1, v2, vcc
	v_rsq_f32_e32 v1, v1
	v_mul_f32_e32 v2, 0x45800000, v1
	v_cndmask_b32_e32 v1, v1, v2, vcc
	v_mov_b32_e32 v2, 0
	ds_write_b32 v2, v1 offset:128
.LBB39_10:
	s_or_b64 exec, exec, s[4:5]
	s_waitcnt lgkmcnt(0)
	s_barrier
	s_and_saveexec_b64 s[4:5], s[0:1]
	s_cbranch_execz .LBB39_13
; %bb.11:
	v_mov_b32_e32 v1, 0
	ds_read_b32 v2, v1 offset:128
	s_mov_b32 s15, 0
	s_add_u32 s2, s10, s2
	s_addc_u32 s3, s11, s3
	s_lshl_b64 s[0:1], s[14:15], 2
	s_add_u32 s2, s2, s0
	s_addc_u32 s3, s3, s1
	s_mov_b64 s[0:1], 0
	v_mov_b32_e32 v3, s17
	v_mov_b32_e32 v4, s3
.LBB39_12:                              ; =>This Inner Loop Header: Depth=1
	v_lshlrev_b64 v[6:7], 2, v[0:1]
	v_add_co_u32_e32 v8, vcc, s16, v6
	v_addc_co_u32_e32 v9, vcc, v3, v7, vcc
	global_load_dword v5, v[8:9], off
	v_add_co_u32_e32 v6, vcc, s2, v6
	v_add_u32_e32 v0, s6, v0
	v_addc_co_u32_e32 v7, vcc, v4, v7, vcc
	v_cmp_le_u32_e32 vcc, s12, v0
	s_or_b64 s[0:1], vcc, s[0:1]
	s_waitcnt vmcnt(0) lgkmcnt(0)
	v_mul_f32_e32 v5, v2, v5
	global_store_dword v[6:7], v5, off
	s_andn2_b64 exec, exec, s[0:1]
	s_cbranch_execnz .LBB39_12
.LBB39_13:
	s_endpgm
.LBB39_14:
	v_lshlrev_b32_e32 v4, 2, v7
	ds_read_b32 v4, v4
	s_or_b64 exec, exec, s[4:5]
	v_cmp_gt_u32_e32 vcc, 32, v0
	s_and_saveexec_b64 s[4:5], vcc
	s_cbranch_execz .LBB39_8
.LBB39_15:
	s_waitcnt lgkmcnt(0)
	ds_bpermute_b32 v1, v1, v4
	s_waitcnt lgkmcnt(0)
	v_add_f32_e32 v1, v4, v1
	ds_bpermute_b32 v2, v2, v1
	s_waitcnt lgkmcnt(0)
	v_add_f32_e32 v1, v1, v2
	;; [unrolled: 3-line block ×5, first 2 shown]
	s_or_b64 exec, exec, s[4:5]
	v_cmp_eq_u32_e32 vcc, 0, v0
	s_and_saveexec_b64 s[4:5], vcc
	s_cbranch_execnz .LBB39_9
	s_branch .LBB39_10
	.section	.rodata,"a",@progbits
	.p2align	6, 0x0
	.amdhsa_kernel rms_norm_kvwrite
		.amdhsa_group_segment_fixed_size 132
		.amdhsa_private_segment_fixed_size 0
		.amdhsa_kernarg_size 288
		.amdhsa_user_sgpr_count 6
		.amdhsa_user_sgpr_private_segment_buffer 1
		.amdhsa_user_sgpr_dispatch_ptr 0
		.amdhsa_user_sgpr_queue_ptr 0
		.amdhsa_user_sgpr_kernarg_segment_ptr 1
		.amdhsa_user_sgpr_dispatch_id 0
		.amdhsa_user_sgpr_flat_scratch_init 0
		.amdhsa_user_sgpr_kernarg_preload_length 0
		.amdhsa_user_sgpr_kernarg_preload_offset 0
		.amdhsa_user_sgpr_private_segment_size 0
		.amdhsa_uses_dynamic_stack 0
		.amdhsa_system_sgpr_private_segment_wavefront_offset 0
		.amdhsa_system_sgpr_workgroup_id_x 1
		.amdhsa_system_sgpr_workgroup_id_y 0
		.amdhsa_system_sgpr_workgroup_id_z 0
		.amdhsa_system_sgpr_workgroup_info 0
		.amdhsa_system_vgpr_workitem_id 0
		.amdhsa_next_free_vgpr 10
		.amdhsa_next_free_sgpr 18
		.amdhsa_accum_offset 12
		.amdhsa_reserve_vcc 1
		.amdhsa_reserve_flat_scratch 0
		.amdhsa_float_round_mode_32 0
		.amdhsa_float_round_mode_16_64 0
		.amdhsa_float_denorm_mode_32 3
		.amdhsa_float_denorm_mode_16_64 3
		.amdhsa_dx10_clamp 1
		.amdhsa_ieee_mode 1
		.amdhsa_fp16_overflow 0
		.amdhsa_tg_split 0
		.amdhsa_exception_fp_ieee_invalid_op 0
		.amdhsa_exception_fp_denorm_src 0
		.amdhsa_exception_fp_ieee_div_zero 0
		.amdhsa_exception_fp_ieee_overflow 0
		.amdhsa_exception_fp_ieee_underflow 0
		.amdhsa_exception_fp_ieee_inexact 0
		.amdhsa_exception_int_div_zero 0
	.end_amdhsa_kernel
	.text
.Lfunc_end39:
	.size	rms_norm_kvwrite, .Lfunc_end39-rms_norm_kvwrite
                                        ; -- End function
	.section	.AMDGPU.csdata,"",@progbits
; Kernel info:
; codeLenInByte = 884
; NumSgprs: 22
; NumVgprs: 10
; NumAgprs: 0
; TotalNumVgprs: 10
; ScratchSize: 0
; MemoryBound: 0
; FloatMode: 240
; IeeeMode: 1
; LDSByteSize: 132 bytes/workgroup (compile time only)
; SGPRBlocks: 2
; VGPRBlocks: 1
; NumSGPRsForWavesPerEU: 22
; NumVGPRsForWavesPerEU: 10
; AccumOffset: 12
; Occupancy: 8
; WaveLimiterHint : 0
; COMPUTE_PGM_RSRC2:SCRATCH_EN: 0
; COMPUTE_PGM_RSRC2:USER_SGPR: 6
; COMPUTE_PGM_RSRC2:TRAP_HANDLER: 0
; COMPUTE_PGM_RSRC2:TGID_X_EN: 1
; COMPUTE_PGM_RSRC2:TGID_Y_EN: 0
; COMPUTE_PGM_RSRC2:TGID_Z_EN: 0
; COMPUTE_PGM_RSRC2:TIDIG_COMP_CNT: 0
; COMPUTE_PGM_RSRC3_GFX90A:ACCUM_OFFSET: 2
; COMPUTE_PGM_RSRC3_GFX90A:TG_SPLIT: 0
	.text
	.protected	geglu                   ; -- Begin function geglu
	.globl	geglu
	.p2align	8
	.type	geglu,@function
geglu:                                  ; @geglu
; %bb.0:
	s_load_dword s0, s[4:5], 0x2c
	s_load_dword s1, s[4:5], 0x18
	s_waitcnt lgkmcnt(0)
	s_and_b32 s0, s0, 0xffff
	s_mul_i32 s6, s6, s0
	v_add_u32_e32 v0, s6, v0
	v_cmp_gt_u32_e32 vcc, s1, v0
	s_and_saveexec_b64 s[0:1], vcc
	s_cbranch_execz .LBB40_6
; %bb.1:
	s_load_dwordx4 s[0:3], s[4:5], 0x0
	s_load_dwordx2 s[6:7], s[4:5], 0x10
	v_mov_b32_e32 v1, 0
	v_lshlrev_b64 v[0:1], 2, v[0:1]
                                        ; implicit-def: $vgpr4
	s_waitcnt lgkmcnt(0)
	v_mov_b32_e32 v3, s1
	v_add_co_u32_e32 v2, vcc, s0, v0
	v_addc_co_u32_e32 v3, vcc, v3, v1, vcc
	global_load_dword v3, v[2:3], off
	s_mov_b32 s0, 0x3f200000
	s_waitcnt vmcnt(0)
	v_mul_f32_e32 v2, 0x3d372713, v3
	v_mul_f32_e32 v2, v3, v2
	v_fma_f32 v2, v3, v2, v3
	v_mul_f32_e32 v2, 0x3f4c422a, v2
	v_cmp_nlt_f32_e64 s[0:1], |v2|, s0
	s_and_saveexec_b64 s[4:5], s[0:1]
	s_xor_b64 s[0:1], exec, s[4:5]
	s_cbranch_execz .LBB40_3
; %bb.2:
	v_add_f32_e64 v4, |v2|, |v2|
	v_mul_f32_e32 v5, 0x3fb8aa3b, v4
	s_mov_b32 s4, 0x3fb8aa3b
	v_rndne_f32_e32 v6, v5
	v_sub_f32_e32 v7, v5, v6
	v_fma_f32 v5, v4, s4, -v5
	v_fmac_f32_e32 v5, 0x32a5705f, v4
	v_add_f32_e32 v5, v7, v5
	v_exp_f32_e32 v5, v5
	v_cvt_i32_f32_e32 v6, v6
	s_mov_b32 s4, 0xc2ce8ed0
	v_cmp_ngt_f32_e32 vcc, s4, v4
	s_mov_b32 s4, 0x42b17218
	v_ldexp_f32 v5, v5, v6
	v_cndmask_b32_e32 v5, 0, v5, vcc
	v_mov_b32_e32 v6, 0x7f800000
	v_cmp_nlt_f32_e32 vcc, s4, v4
	v_cndmask_b32_e32 v4, v6, v5, vcc
	v_add_f32_e32 v4, 1.0, v4
	v_rcp_f32_e32 v4, v4
	v_fma_f32 v4, v4, -2.0, 1.0
.LBB40_3:
	s_andn2_saveexec_b64 s[0:1], s[0:1]
; %bb.4:
	v_mul_f32_e32 v4, v2, v2
	v_mov_b32_e32 v5, 0x3ca908c9
	v_fmac_f32_e32 v5, 0xbbbac73d, v4
	v_mov_b32_e32 v6, 0xbd5c1c4e
	v_fmac_f32_e32 v6, v4, v5
	;; [unrolled: 2-line block ×4, first 2 shown]
	v_mul_f32_e64 v5, |v2|, v6
	v_fma_f32 v4, v4, v5, |v2|
; %bb.5:
	s_or_b64 exec, exec, s[0:1]
	v_mov_b32_e32 v5, s3
	v_add_co_u32_e32 v6, vcc, s2, v0
	v_addc_co_u32_e32 v7, vcc, v5, v1, vcc
	global_load_dword v5, v[6:7], off
	s_brev_b32 s0, -2
	v_bfi_b32 v2, s0, v4, v2
	v_mul_f32_e32 v3, 0.5, v3
	v_add_f32_e32 v2, 1.0, v2
	v_mov_b32_e32 v6, s7
	v_mul_f32_e32 v2, v3, v2
	v_add_co_u32_e32 v0, vcc, s6, v0
	v_addc_co_u32_e32 v1, vcc, v6, v1, vcc
	s_waitcnt vmcnt(0)
	v_mul_f32_e32 v2, v5, v2
	global_store_dword v[0:1], v2, off
.LBB40_6:
	s_endpgm
	.section	.rodata,"a",@progbits
	.p2align	6, 0x0
	.amdhsa_kernel geglu
		.amdhsa_group_segment_fixed_size 0
		.amdhsa_private_segment_fixed_size 0
		.amdhsa_kernarg_size 288
		.amdhsa_user_sgpr_count 6
		.amdhsa_user_sgpr_private_segment_buffer 1
		.amdhsa_user_sgpr_dispatch_ptr 0
		.amdhsa_user_sgpr_queue_ptr 0
		.amdhsa_user_sgpr_kernarg_segment_ptr 1
		.amdhsa_user_sgpr_dispatch_id 0
		.amdhsa_user_sgpr_flat_scratch_init 0
		.amdhsa_user_sgpr_kernarg_preload_length 0
		.amdhsa_user_sgpr_kernarg_preload_offset 0
		.amdhsa_user_sgpr_private_segment_size 0
		.amdhsa_uses_dynamic_stack 0
		.amdhsa_system_sgpr_private_segment_wavefront_offset 0
		.amdhsa_system_sgpr_workgroup_id_x 1
		.amdhsa_system_sgpr_workgroup_id_y 0
		.amdhsa_system_sgpr_workgroup_id_z 0
		.amdhsa_system_sgpr_workgroup_info 0
		.amdhsa_system_vgpr_workitem_id 0
		.amdhsa_next_free_vgpr 8
		.amdhsa_next_free_sgpr 8
		.amdhsa_accum_offset 8
		.amdhsa_reserve_vcc 1
		.amdhsa_reserve_flat_scratch 0
		.amdhsa_float_round_mode_32 0
		.amdhsa_float_round_mode_16_64 0
		.amdhsa_float_denorm_mode_32 3
		.amdhsa_float_denorm_mode_16_64 3
		.amdhsa_dx10_clamp 1
		.amdhsa_ieee_mode 1
		.amdhsa_fp16_overflow 0
		.amdhsa_tg_split 0
		.amdhsa_exception_fp_ieee_invalid_op 0
		.amdhsa_exception_fp_denorm_src 0
		.amdhsa_exception_fp_ieee_div_zero 0
		.amdhsa_exception_fp_ieee_overflow 0
		.amdhsa_exception_fp_ieee_underflow 0
		.amdhsa_exception_fp_ieee_inexact 0
		.amdhsa_exception_int_div_zero 0
	.end_amdhsa_kernel
	.text
.Lfunc_end40:
	.size	geglu, .Lfunc_end40-geglu
                                        ; -- End function
	.section	.AMDGPU.csdata,"",@progbits
; Kernel info:
; codeLenInByte = 440
; NumSgprs: 12
; NumVgprs: 8
; NumAgprs: 0
; TotalNumVgprs: 8
; ScratchSize: 0
; MemoryBound: 0
; FloatMode: 240
; IeeeMode: 1
; LDSByteSize: 0 bytes/workgroup (compile time only)
; SGPRBlocks: 1
; VGPRBlocks: 0
; NumSGPRsForWavesPerEU: 12
; NumVGPRsForWavesPerEU: 8
; AccumOffset: 8
; Occupancy: 8
; WaveLimiterHint : 0
; COMPUTE_PGM_RSRC2:SCRATCH_EN: 0
; COMPUTE_PGM_RSRC2:USER_SGPR: 6
; COMPUTE_PGM_RSRC2:TRAP_HANDLER: 0
; COMPUTE_PGM_RSRC2:TGID_X_EN: 1
; COMPUTE_PGM_RSRC2:TGID_Y_EN: 0
; COMPUTE_PGM_RSRC2:TGID_Z_EN: 0
; COMPUTE_PGM_RSRC2:TIDIG_COMP_CNT: 0
; COMPUTE_PGM_RSRC3_GFX90A:ACCUM_OFFSET: 1
; COMPUTE_PGM_RSRC3_GFX90A:TG_SPLIT: 0
	.text
	.protected	scalar_mul              ; -- Begin function scalar_mul
	.globl	scalar_mul
	.p2align	8
	.type	scalar_mul,@function
scalar_mul:                             ; @scalar_mul
; %bb.0:
	s_load_dword s0, s[4:5], 0x24
	s_load_dword s1, s[4:5], 0x10
	s_waitcnt lgkmcnt(0)
	s_and_b32 s0, s0, 0xffff
	s_mul_i32 s6, s6, s0
	v_add_u32_e32 v0, s6, v0
	v_cmp_gt_u32_e32 vcc, s1, v0
	s_and_saveexec_b64 s[0:1], vcc
	s_cbranch_execz .LBB41_2
; %bb.1:
	s_load_dwordx4 s[0:3], s[4:5], 0x0
	v_mov_b32_e32 v1, 0
	v_lshlrev_b64 v[0:1], 2, v[0:1]
	s_waitcnt lgkmcnt(0)
	v_mov_b32_e32 v2, s1
	v_add_co_u32_e32 v0, vcc, s0, v0
	v_addc_co_u32_e32 v1, vcc, v2, v1, vcc
	global_load_dword v2, v[0:1], off
	s_load_dword s0, s[2:3], 0x0
	s_waitcnt vmcnt(0) lgkmcnt(0)
	v_mul_f32_e32 v2, s0, v2
	global_store_dword v[0:1], v2, off
.LBB41_2:
	s_endpgm
	.section	.rodata,"a",@progbits
	.p2align	6, 0x0
	.amdhsa_kernel scalar_mul
		.amdhsa_group_segment_fixed_size 0
		.amdhsa_private_segment_fixed_size 0
		.amdhsa_kernarg_size 280
		.amdhsa_user_sgpr_count 6
		.amdhsa_user_sgpr_private_segment_buffer 1
		.amdhsa_user_sgpr_dispatch_ptr 0
		.amdhsa_user_sgpr_queue_ptr 0
		.amdhsa_user_sgpr_kernarg_segment_ptr 1
		.amdhsa_user_sgpr_dispatch_id 0
		.amdhsa_user_sgpr_flat_scratch_init 0
		.amdhsa_user_sgpr_kernarg_preload_length 0
		.amdhsa_user_sgpr_kernarg_preload_offset 0
		.amdhsa_user_sgpr_private_segment_size 0
		.amdhsa_uses_dynamic_stack 0
		.amdhsa_system_sgpr_private_segment_wavefront_offset 0
		.amdhsa_system_sgpr_workgroup_id_x 1
		.amdhsa_system_sgpr_workgroup_id_y 0
		.amdhsa_system_sgpr_workgroup_id_z 0
		.amdhsa_system_sgpr_workgroup_info 0
		.amdhsa_system_vgpr_workitem_id 0
		.amdhsa_next_free_vgpr 3
		.amdhsa_next_free_sgpr 7
		.amdhsa_accum_offset 4
		.amdhsa_reserve_vcc 1
		.amdhsa_reserve_flat_scratch 0
		.amdhsa_float_round_mode_32 0
		.amdhsa_float_round_mode_16_64 0
		.amdhsa_float_denorm_mode_32 3
		.amdhsa_float_denorm_mode_16_64 3
		.amdhsa_dx10_clamp 1
		.amdhsa_ieee_mode 1
		.amdhsa_fp16_overflow 0
		.amdhsa_tg_split 0
		.amdhsa_exception_fp_ieee_invalid_op 0
		.amdhsa_exception_fp_denorm_src 0
		.amdhsa_exception_fp_ieee_div_zero 0
		.amdhsa_exception_fp_ieee_overflow 0
		.amdhsa_exception_fp_ieee_underflow 0
		.amdhsa_exception_fp_ieee_inexact 0
		.amdhsa_exception_int_div_zero 0
	.end_amdhsa_kernel
	.text
.Lfunc_end41:
	.size	scalar_mul, .Lfunc_end41-scalar_mul
                                        ; -- End function
	.section	.AMDGPU.csdata,"",@progbits
; Kernel info:
; codeLenInByte = 120
; NumSgprs: 11
; NumVgprs: 3
; NumAgprs: 0
; TotalNumVgprs: 3
; ScratchSize: 0
; MemoryBound: 0
; FloatMode: 240
; IeeeMode: 1
; LDSByteSize: 0 bytes/workgroup (compile time only)
; SGPRBlocks: 1
; VGPRBlocks: 0
; NumSGPRsForWavesPerEU: 11
; NumVGPRsForWavesPerEU: 3
; AccumOffset: 4
; Occupancy: 8
; WaveLimiterHint : 0
; COMPUTE_PGM_RSRC2:SCRATCH_EN: 0
; COMPUTE_PGM_RSRC2:USER_SGPR: 6
; COMPUTE_PGM_RSRC2:TRAP_HANDLER: 0
; COMPUTE_PGM_RSRC2:TGID_X_EN: 1
; COMPUTE_PGM_RSRC2:TGID_Y_EN: 0
; COMPUTE_PGM_RSRC2:TGID_Z_EN: 0
; COMPUTE_PGM_RSRC2:TIDIG_COMP_CNT: 0
; COMPUTE_PGM_RSRC3_GFX90A:ACCUM_OFFSET: 0
; COMPUTE_PGM_RSRC3_GFX90A:TG_SPLIT: 0
	.text
	.protected	mul_vec_scaled          ; -- Begin function mul_vec_scaled
	.globl	mul_vec_scaled
	.p2align	8
	.type	mul_vec_scaled,@function
mul_vec_scaled:                         ; @mul_vec_scaled
; %bb.0:
	s_load_dword s0, s[4:5], 0x24
	s_load_dword s1, s[4:5], 0x10
	s_waitcnt lgkmcnt(0)
	s_and_b32 s0, s0, 0xffff
	s_mul_i32 s6, s6, s0
	v_add_u32_e32 v0, s6, v0
	v_cmp_gt_u32_e32 vcc, s1, v0
	s_and_saveexec_b64 s[0:1], vcc
	s_cbranch_execz .LBB42_2
; %bb.1:
	s_load_dwordx4 s[0:3], s[4:5], 0x0
	s_load_dword s6, s[4:5], 0x14
	v_mov_b32_e32 v1, 0
	v_lshlrev_b64 v[0:1], 2, v[0:1]
	s_waitcnt lgkmcnt(0)
	v_mov_b32_e32 v3, s1
	v_add_co_u32_e32 v2, vcc, s0, v0
	v_addc_co_u32_e32 v3, vcc, v3, v1, vcc
	v_mov_b32_e32 v5, s3
	v_add_co_u32_e32 v0, vcc, s2, v0
	v_addc_co_u32_e32 v1, vcc, v5, v1, vcc
	global_load_dword v4, v[2:3], off
	s_nop 0
	global_load_dword v0, v[0:1], off
	s_waitcnt vmcnt(0)
	v_mul_f32_e32 v0, v4, v0
	v_mul_f32_e32 v0, s6, v0
	global_store_dword v[2:3], v0, off
.LBB42_2:
	s_endpgm
	.section	.rodata,"a",@progbits
	.p2align	6, 0x0
	.amdhsa_kernel mul_vec_scaled
		.amdhsa_group_segment_fixed_size 0
		.amdhsa_private_segment_fixed_size 0
		.amdhsa_kernarg_size 280
		.amdhsa_user_sgpr_count 6
		.amdhsa_user_sgpr_private_segment_buffer 1
		.amdhsa_user_sgpr_dispatch_ptr 0
		.amdhsa_user_sgpr_queue_ptr 0
		.amdhsa_user_sgpr_kernarg_segment_ptr 1
		.amdhsa_user_sgpr_dispatch_id 0
		.amdhsa_user_sgpr_flat_scratch_init 0
		.amdhsa_user_sgpr_kernarg_preload_length 0
		.amdhsa_user_sgpr_kernarg_preload_offset 0
		.amdhsa_user_sgpr_private_segment_size 0
		.amdhsa_uses_dynamic_stack 0
		.amdhsa_system_sgpr_private_segment_wavefront_offset 0
		.amdhsa_system_sgpr_workgroup_id_x 1
		.amdhsa_system_sgpr_workgroup_id_y 0
		.amdhsa_system_sgpr_workgroup_id_z 0
		.amdhsa_system_sgpr_workgroup_info 0
		.amdhsa_system_vgpr_workitem_id 0
		.amdhsa_next_free_vgpr 6
		.amdhsa_next_free_sgpr 7
		.amdhsa_accum_offset 8
		.amdhsa_reserve_vcc 1
		.amdhsa_reserve_flat_scratch 0
		.amdhsa_float_round_mode_32 0
		.amdhsa_float_round_mode_16_64 0
		.amdhsa_float_denorm_mode_32 3
		.amdhsa_float_denorm_mode_16_64 3
		.amdhsa_dx10_clamp 1
		.amdhsa_ieee_mode 1
		.amdhsa_fp16_overflow 0
		.amdhsa_tg_split 0
		.amdhsa_exception_fp_ieee_invalid_op 0
		.amdhsa_exception_fp_denorm_src 0
		.amdhsa_exception_fp_ieee_div_zero 0
		.amdhsa_exception_fp_ieee_overflow 0
		.amdhsa_exception_fp_ieee_underflow 0
		.amdhsa_exception_fp_ieee_inexact 0
		.amdhsa_exception_int_div_zero 0
	.end_amdhsa_kernel
	.text
.Lfunc_end42:
	.size	mul_vec_scaled, .Lfunc_end42-mul_vec_scaled
                                        ; -- End function
	.section	.AMDGPU.csdata,"",@progbits
; Kernel info:
; codeLenInByte = 148
; NumSgprs: 11
; NumVgprs: 6
; NumAgprs: 0
; TotalNumVgprs: 6
; ScratchSize: 0
; MemoryBound: 0
; FloatMode: 240
; IeeeMode: 1
; LDSByteSize: 0 bytes/workgroup (compile time only)
; SGPRBlocks: 1
; VGPRBlocks: 0
; NumSGPRsForWavesPerEU: 11
; NumVGPRsForWavesPerEU: 6
; AccumOffset: 8
; Occupancy: 8
; WaveLimiterHint : 0
; COMPUTE_PGM_RSRC2:SCRATCH_EN: 0
; COMPUTE_PGM_RSRC2:USER_SGPR: 6
; COMPUTE_PGM_RSRC2:TRAP_HANDLER: 0
; COMPUTE_PGM_RSRC2:TGID_X_EN: 1
; COMPUTE_PGM_RSRC2:TGID_Y_EN: 0
; COMPUTE_PGM_RSRC2:TGID_Z_EN: 0
; COMPUTE_PGM_RSRC2:TIDIG_COMP_CNT: 0
; COMPUTE_PGM_RSRC3_GFX90A:ACCUM_OFFSET: 1
; COMPUTE_PGM_RSRC3_GFX90A:TG_SPLIT: 0
	.text
	.protected	zero_vec                ; -- Begin function zero_vec
	.globl	zero_vec
	.p2align	8
	.type	zero_vec,@function
zero_vec:                               ; @zero_vec
; %bb.0:
	s_load_dword s0, s[4:5], 0x1c
	s_load_dword s1, s[4:5], 0x8
	s_waitcnt lgkmcnt(0)
	s_and_b32 s0, s0, 0xffff
	s_mul_i32 s6, s6, s0
	v_add_u32_e32 v0, s6, v0
	v_cmp_gt_u32_e32 vcc, s1, v0
	s_and_saveexec_b64 s[0:1], vcc
	s_cbranch_execz .LBB43_2
; %bb.1:
	s_load_dwordx2 s[0:1], s[4:5], 0x0
	v_mov_b32_e32 v1, 0
	v_lshlrev_b64 v[2:3], 2, v[0:1]
	s_waitcnt lgkmcnt(0)
	v_mov_b32_e32 v0, s1
	v_add_co_u32_e32 v2, vcc, s0, v2
	v_addc_co_u32_e32 v3, vcc, v0, v3, vcc
	global_store_dword v[2:3], v1, off
.LBB43_2:
	s_endpgm
	.section	.rodata,"a",@progbits
	.p2align	6, 0x0
	.amdhsa_kernel zero_vec
		.amdhsa_group_segment_fixed_size 0
		.amdhsa_private_segment_fixed_size 0
		.amdhsa_kernarg_size 272
		.amdhsa_user_sgpr_count 6
		.amdhsa_user_sgpr_private_segment_buffer 1
		.amdhsa_user_sgpr_dispatch_ptr 0
		.amdhsa_user_sgpr_queue_ptr 0
		.amdhsa_user_sgpr_kernarg_segment_ptr 1
		.amdhsa_user_sgpr_dispatch_id 0
		.amdhsa_user_sgpr_flat_scratch_init 0
		.amdhsa_user_sgpr_kernarg_preload_length 0
		.amdhsa_user_sgpr_kernarg_preload_offset 0
		.amdhsa_user_sgpr_private_segment_size 0
		.amdhsa_uses_dynamic_stack 0
		.amdhsa_system_sgpr_private_segment_wavefront_offset 0
		.amdhsa_system_sgpr_workgroup_id_x 1
		.amdhsa_system_sgpr_workgroup_id_y 0
		.amdhsa_system_sgpr_workgroup_id_z 0
		.amdhsa_system_sgpr_workgroup_info 0
		.amdhsa_system_vgpr_workitem_id 0
		.amdhsa_next_free_vgpr 4
		.amdhsa_next_free_sgpr 7
		.amdhsa_accum_offset 4
		.amdhsa_reserve_vcc 1
		.amdhsa_reserve_flat_scratch 0
		.amdhsa_float_round_mode_32 0
		.amdhsa_float_round_mode_16_64 0
		.amdhsa_float_denorm_mode_32 3
		.amdhsa_float_denorm_mode_16_64 3
		.amdhsa_dx10_clamp 1
		.amdhsa_ieee_mode 1
		.amdhsa_fp16_overflow 0
		.amdhsa_tg_split 0
		.amdhsa_exception_fp_ieee_invalid_op 0
		.amdhsa_exception_fp_denorm_src 0
		.amdhsa_exception_fp_ieee_div_zero 0
		.amdhsa_exception_fp_ieee_overflow 0
		.amdhsa_exception_fp_ieee_underflow 0
		.amdhsa_exception_fp_ieee_inexact 0
		.amdhsa_exception_int_div_zero 0
	.end_amdhsa_kernel
	.text
.Lfunc_end43:
	.size	zero_vec, .Lfunc_end43-zero_vec
                                        ; -- End function
	.section	.AMDGPU.csdata,"",@progbits
; Kernel info:
; codeLenInByte = 96
; NumSgprs: 11
; NumVgprs: 4
; NumAgprs: 0
; TotalNumVgprs: 4
; ScratchSize: 0
; MemoryBound: 0
; FloatMode: 240
; IeeeMode: 1
; LDSByteSize: 0 bytes/workgroup (compile time only)
; SGPRBlocks: 1
; VGPRBlocks: 0
; NumSGPRsForWavesPerEU: 11
; NumVGPRsForWavesPerEU: 4
; AccumOffset: 4
; Occupancy: 8
; WaveLimiterHint : 0
; COMPUTE_PGM_RSRC2:SCRATCH_EN: 0
; COMPUTE_PGM_RSRC2:USER_SGPR: 6
; COMPUTE_PGM_RSRC2:TRAP_HANDLER: 0
; COMPUTE_PGM_RSRC2:TGID_X_EN: 1
; COMPUTE_PGM_RSRC2:TGID_Y_EN: 0
; COMPUTE_PGM_RSRC2:TGID_Z_EN: 0
; COMPUTE_PGM_RSRC2:TIDIG_COMP_CNT: 0
; COMPUTE_PGM_RSRC3_GFX90A:ACCUM_OFFSET: 0
; COMPUTE_PGM_RSRC3_GFX90A:TG_SPLIT: 0
	.text
	.protected	gemma_attention         ; -- Begin function gemma_attention
	.globl	gemma_attention
	.p2align	8
	.type	gemma_attention,@function
gemma_attention:                        ; @gemma_attention
; %bb.0:
	s_load_dwordx4 s[16:19], s[4:5], 0x20
	s_load_dwordx2 s[0:1], s[4:5], 0x30
	s_waitcnt lgkmcnt(0)
	v_cvt_f32_u32_e32 v1, s18
	s_sub_i32 s2, 0, s18
	v_rcp_iflag_f32_e32 v1, v1
	v_mul_f32_e32 v1, 0x4f7ffffe, v1
	v_cvt_u32_f32_e32 v1, v1
	v_readfirstlane_b32 s3, v1
	s_mul_i32 s2, s2, s3
	s_mul_hi_u32 s2, s3, s2
	s_add_i32 s3, s3, s2
	s_mul_hi_u32 s2, s17, s3
	s_mul_i32 s3, s2, s18
	s_sub_i32 s3, s17, s3
	s_add_i32 s7, s2, 1
	s_sub_i32 s8, s3, s18
	s_cmp_ge_u32 s3, s18
	s_cselect_b32 s2, s7, s2
	s_cselect_b32 s3, s8, s3
	s_add_i32 s7, s2, 1
	s_cmp_ge_u32 s3, s18
	s_cselect_b32 s7, s7, s2
	v_cvt_f32_u32_e32 v1, s7
	s_sub_i32 s2, 0, s7
	v_rcp_iflag_f32_e32 v1, v1
	v_mul_f32_e32 v1, 0x4f7ffffe, v1
	v_cvt_u32_f32_e32 v1, v1
	v_readfirstlane_b32 s3, v1
	s_mul_i32 s2, s2, s3
	s_mul_hi_u32 s2, s3, s2
	s_add_i32 s3, s3, s2
	s_cmp_eq_u32 s0, 0
	s_mul_hi_u32 s17, s6, s3
	s_cbranch_scc1 .LBB44_38
; %bb.1:
	v_mov_b32_e32 v4, s0
	s_cbranch_execnz .LBB44_3
.LBB44_2:
	v_cvt_f32_u32_e32 v1, s16
	s_cmp_eq_u32 s16, 0
	s_cselect_b64 vcc, -1, 0
	v_rsq_f32_e32 v1, v1
	v_mul_f32_e32 v2, 0x45800000, v1
	v_cndmask_b32_e32 v4, v1, v2, vcc
.LBB44_3:
	s_mul_i32 s0, s17, s7
	s_sub_i32 s0, s6, s0
	s_add_i32 s2, s17, 1
	s_sub_i32 s3, s0, s7
	s_cmp_ge_u32 s0, s7
	s_cselect_b32 s2, s2, s17
	s_cselect_b32 s0, s3, s0
	s_add_i32 s3, s2, 1
	s_cmp_ge_u32 s0, s7
	s_cselect_b32 s20, s3, s2
	s_cmp_lg_u32 s1, 0
	s_cselect_b64 s[2:3], -1, 0
	s_cmp_gt_u32 s19, s1
	s_mul_hi_u32 s23, s16, s6
	s_mul_i32 s22, s16, s6
	s_cselect_b64 s[6:7], -1, 0
	s_load_dwordx8 s[8:15], s[4:5], 0x0
	s_and_b64 s[2:3], s[2:3], s[6:7]
	s_sub_i32 s6, s19, s1
	s_and_b64 s[0:1], s[2:3], exec
	s_cselect_b32 s30, s6, 0
	v_add_u32_e32 v1, s30, v0
	s_mov_b32 s17, 0
	v_cmp_gt_u32_e64 s[0:1], s19, v1
	v_mov_b32_e32 v5, 0xff7fc99e
	s_and_saveexec_b64 s[6:7], s[0:1]
	s_cbranch_execz .LBB44_11
; %bb.4:
	s_lshl_b64 s[2:3], s[22:23], 2
	s_waitcnt lgkmcnt(0)
	s_add_u32 s8, s8, s2
	s_load_dword s24, s[4:5], 0x44
	s_addc_u32 s9, s9, s3
	s_cmp_lg_u32 s16, 0
	s_cselect_b64 s[2:3], -1, 0
	v_cndmask_b32_e64 v2, 0, 1, s[2:3]
	s_mov_b32 s21, s17
	s_waitcnt lgkmcnt(0)
	s_and_b32 s31, s24, 0xffff
	s_lshl_b64 s[26:27], s[16:17], 2
	s_mov_b64 s[24:25], 0
	v_mov_b32_e32 v5, 0xff7fc99e
	v_cmp_ne_u32_e64 s[2:3], 1, v2
	v_mov_b32_e32 v6, 0x108
	v_mov_b32_e32 v7, v1
	s_branch .LBB44_7
.LBB44_5:                               ;   in Loop: Header=BB44_7 Depth=1
	v_mov_b32_e32 v8, 0
.LBB44_6:                               ;   in Loop: Header=BB44_7 Depth=1
	v_mul_f32_e32 v2, v4, v8
	v_lshl_add_u32 v3, v7, 2, v6
	v_add_u32_e32 v7, s31, v7
	ds_write_b32 v3, v2
	v_max_f32_e32 v3, v5, v5
	v_cmp_le_u32_e32 vcc, s19, v7
	s_or_b64 s[24:25], vcc, s[24:25]
	v_max_f32_e32 v5, v3, v2
	s_andn2_b64 exec, exec, s[24:25]
	s_cbranch_execz .LBB44_10
.LBB44_7:                               ; =>This Loop Header: Depth=1
                                        ;     Child Loop BB44_9 Depth 2
	s_and_b64 vcc, exec, s[2:3]
	s_cbranch_vccnz .LBB44_5
; %bb.8:                                ;   in Loop: Header=BB44_7 Depth=1
	v_pk_mov_b32 v[2:3], s[20:21], s[20:21] op_sel:[0,1]
	v_mad_u64_u32 v[2:3], s[28:29], s18, v7, v[2:3]
	v_pk_mov_b32 v[8:9], s[10:11], s[10:11] op_sel:[0,1]
	v_mul_lo_u32 v10, s26, v3
	v_mul_lo_u32 v11, s27, v2
	v_mad_u64_u32 v[2:3], s[28:29], s26, v2, v[8:9]
	v_add3_u32 v3, v11, v3, v10
	v_mov_b32_e32 v8, 0
	s_mov_b64 s[28:29], s[8:9]
	s_mov_b32 s17, s16
.LBB44_9:                               ;   Parent Loop BB44_7 Depth=1
                                        ; =>  This Inner Loop Header: Depth=2
	global_load_dword v9, v[2:3], off
	s_load_dword s33, s[28:29], 0x0
	s_add_i32 s17, s17, -1
	s_add_u32 s28, s28, 4
	v_add_co_u32_e32 v2, vcc, 4, v2
	s_addc_u32 s29, s29, 0
	v_addc_co_u32_e32 v3, vcc, 0, v3, vcc
	s_cmp_eq_u32 s17, 0
	s_waitcnt vmcnt(0) lgkmcnt(0)
	v_fmac_f32_e32 v8, s33, v9
	s_cbranch_scc0 .LBB44_9
	s_branch .LBB44_6
.LBB44_10:
	s_or_b64 exec, exec, s[24:25]
.LBB44_11:
	s_or_b64 exec, exec, s[6:7]
	v_mbcnt_lo_u32_b32 v2, -1, 0
	v_mbcnt_hi_u32_b32 v6, -1, v2
	v_and_b32_e32 v7, 63, v6
	v_cmp_gt_u32_e32 vcc, 48, v7
	v_cndmask_b32_e64 v2, 0, 1, vcc
	v_lshlrev_b32_e32 v2, 4, v2
	v_add_lshl_u32 v2, v2, v6, 2
	ds_bpermute_b32 v3, v2, v5
	v_cmp_gt_u32_e32 vcc, 56, v7
	v_max_f32_e32 v4, v5, v5
	v_cndmask_b32_e64 v5, 0, 1, vcc
	v_cmp_gt_u32_e32 vcc, 60, v7
	s_waitcnt lgkmcnt(0)
	v_max_f32_e32 v3, v3, v3
	v_max_f32_e32 v4, v4, v3
	v_lshlrev_b32_e32 v3, 3, v5
	v_add_lshl_u32 v3, v3, v6, 2
	ds_bpermute_b32 v5, v3, v4
	v_cndmask_b32_e64 v8, 0, 1, vcc
	v_cmp_gt_u32_e32 vcc, 62, v7
	v_cndmask_b32_e64 v9, 0, 1, vcc
	v_cmp_ne_u32_e32 vcc, 63, v7
	s_waitcnt lgkmcnt(0)
	v_max_f32_e32 v5, v5, v5
	v_max_f32_e32 v5, v4, v5
	v_lshlrev_b32_e32 v4, 2, v8
	v_add_lshl_u32 v4, v4, v6, 2
	ds_bpermute_b32 v8, v4, v5
	v_and_b32_e32 v7, 31, v0
	s_waitcnt lgkmcnt(0)
	v_max_f32_e32 v8, v8, v8
	v_max_f32_e32 v8, v5, v8
	v_lshlrev_b32_e32 v5, 1, v9
	v_add_lshl_u32 v5, v5, v6, 2
	ds_bpermute_b32 v9, v5, v8
	v_addc_co_u32_e32 v6, vcc, 0, v6, vcc
	v_lshlrev_b32_e32 v6, 2, v6
	v_cmp_eq_u32_e32 vcc, 0, v7
	s_waitcnt lgkmcnt(0)
	v_max_f32_e32 v9, v9, v9
	v_max_f32_e32 v8, v8, v9
	ds_bpermute_b32 v9, v6, v8
	s_and_saveexec_b64 s[2:3], vcc
	s_cbranch_execz .LBB44_13
; %bb.12:
	s_waitcnt lgkmcnt(0)
	v_max_f32_e32 v9, v9, v9
	v_max_f32_e32 v8, v8, v8
	;; [unrolled: 1-line block ×3, first 2 shown]
	v_lshrrev_b32_e32 v9, 3, v0
	ds_write_b32 v9, v8
.LBB44_13:
	s_or_b64 exec, exec, s[2:3]
	s_waitcnt lgkmcnt(0)
	s_barrier
	s_load_dword s2, s[4:5], 0x44
	v_mov_b32_e32 v8, 0xff7fc99e
	s_waitcnt lgkmcnt(0)
	s_and_b32 s17, s2, 0xffff
	s_add_i32 s2, s17, 31
	s_lshr_b32 s2, s2, 5
	v_cmp_gt_u32_e64 s[2:3], s2, v0
	s_and_saveexec_b64 s[4:5], s[2:3]
	s_cbranch_execnz .LBB44_34
; %bb.14:
	s_or_b64 exec, exec, s[4:5]
	v_cmp_gt_u32_e64 s[4:5], 32, v0
	s_and_saveexec_b64 s[6:7], s[4:5]
	s_cbranch_execnz .LBB44_35
.LBB44_15:
	s_or_b64 exec, exec, s[6:7]
	v_cmp_eq_u32_e64 s[6:7], 0, v0
	s_and_saveexec_b64 s[8:9], s[6:7]
	s_cbranch_execz .LBB44_17
.LBB44_16:
	v_mov_b32_e32 v9, 0
	s_waitcnt lgkmcnt(0)
	ds_write_b32 v9, v8 offset:256
.LBB44_17:
	s_or_b64 exec, exec, s[8:9]
	s_waitcnt lgkmcnt(0)
	v_mov_b32_e32 v8, 0
	s_barrier
	s_and_saveexec_b64 s[8:9], s[0:1]
	s_cbranch_execz .LBB44_21
; %bb.18:
	v_mov_b32_e32 v8, 0
	ds_read_b32 v9, v8 offset:256
	v_mov_b32_e32 v10, 0x108
	v_lshl_add_u32 v10, v1, 2, v10
	s_lshl_b32 s21, s17, 2
	s_mov_b64 s[10:11], 0
	s_mov_b32 s24, 0x3fb8aa3b
	s_mov_b32 s25, 0xc2ce8ed0
	s_mov_b32 s26, 0x42b17218
	v_mov_b32_e32 v11, 0x7f800000
.LBB44_19:                              ; =>This Inner Loop Header: Depth=1
	ds_read_b32 v12, v10
	v_add_u32_e32 v1, s17, v1
	s_waitcnt lgkmcnt(0)
	v_sub_f32_e32 v12, v12, v9
	v_mul_f32_e32 v13, 0x3fb8aa3b, v12
	v_fma_f32 v14, v12, s24, -v13
	v_rndne_f32_e32 v15, v13
	v_fmac_f32_e32 v14, 0x32a5705f, v12
	v_sub_f32_e32 v13, v13, v15
	v_add_f32_e32 v13, v13, v14
	v_cvt_i32_f32_e32 v15, v15
	v_exp_f32_e32 v13, v13
	v_cmp_ngt_f32_e64 s[0:1], s25, v12
	v_ldexp_f32 v13, v13, v15
	v_cndmask_b32_e64 v13, 0, v13, s[0:1]
	v_cmp_nlt_f32_e64 s[0:1], s26, v12
	v_cndmask_b32_e64 v12, v11, v13, s[0:1]
	v_cmp_le_u32_e64 s[0:1], s19, v1
	ds_write_b32 v10, v12
	v_add_f32_e32 v8, v8, v12
	s_or_b64 s[10:11], s[0:1], s[10:11]
	v_add_u32_e32 v10, s21, v10
	s_andn2_b64 exec, exec, s[10:11]
	s_cbranch_execnz .LBB44_19
; %bb.20:
	s_or_b64 exec, exec, s[10:11]
.LBB44_21:
	s_or_b64 exec, exec, s[8:9]
	ds_bpermute_b32 v1, v2, v8
	s_waitcnt lgkmcnt(0)
	v_add_f32_e32 v1, v8, v1
	ds_bpermute_b32 v8, v3, v1
	s_waitcnt lgkmcnt(0)
	v_add_f32_e32 v1, v1, v8
	;; [unrolled: 3-line block ×4, first 2 shown]
	ds_bpermute_b32 v8, v6, v1
	s_and_saveexec_b64 s[0:1], vcc
	s_cbranch_execz .LBB44_23
; %bb.22:
	s_waitcnt lgkmcnt(0)
	v_add_f32_e32 v1, v1, v8
	v_lshrrev_b32_e32 v8, 3, v0
	ds_write_b32 v8, v1 offset:128
.LBB44_23:
	s_or_b64 exec, exec, s[0:1]
	v_mov_b32_e32 v1, 0
	s_waitcnt lgkmcnt(0)
	s_barrier
	s_and_saveexec_b64 s[0:1], s[2:3]
	s_cbranch_execnz .LBB44_36
; %bb.24:
	s_or_b64 exec, exec, s[0:1]
	s_and_saveexec_b64 s[0:1], s[4:5]
	s_cbranch_execnz .LBB44_37
.LBB44_25:
	s_or_b64 exec, exec, s[0:1]
	s_and_saveexec_b64 s[0:1], s[6:7]
	s_cbranch_execz .LBB44_27
.LBB44_26:
	s_waitcnt lgkmcnt(0)
	v_div_scale_f32 v2, s[2:3], v1, v1, 1.0
	v_rcp_f32_e32 v3, v2
	v_div_scale_f32 v4, vcc, 1.0, v1, 1.0
	v_fma_f32 v5, -v2, v3, 1.0
	v_fmac_f32_e32 v3, v5, v3
	v_mul_f32_e32 v5, v4, v3
	v_fma_f32 v6, -v2, v5, v4
	v_fmac_f32_e32 v5, v6, v3
	v_fma_f32 v2, -v2, v5, v4
	v_div_fmas_f32 v2, v2, v3, v5
	v_div_fixup_f32 v2, v2, v1, 1.0
	v_cmp_lt_f32_e32 vcc, 0, v1
	v_cndmask_b32_e32 v1, 0, v2, vcc
	v_mov_b32_e32 v2, 0
	ds_write_b32 v2, v1 offset:260
.LBB44_27:
	s_or_b64 exec, exec, s[0:1]
	v_cmp_gt_u32_e32 vcc, s16, v0
	s_waitcnt lgkmcnt(0)
	s_barrier
	s_and_saveexec_b64 s[0:1], vcc
	s_cbranch_execz .LBB44_33
; %bb.28:
	s_cmp_lt_u32 s30, s19
	s_cselect_b64 s[0:1], -1, 0
	s_lshl_b64 s[2:3], s[22:23], 2
	s_add_u32 s6, s14, s2
	s_addc_u32 s10, s15, s3
	s_mul_i32 s3, s30, s18
	s_mul_hi_u32 s2, s30, s18
	s_add_u32 s4, s3, s20
	s_addc_u32 s2, s2, 0
	s_mul_i32 s2, s2, s16
	s_mul_hi_u32 s3, s4, s16
	v_mov_b32_e32 v1, 0
	s_add_i32 s3, s3, s2
	s_mul_i32 s2, s4, s16
	ds_read_b32 v6, v1 offset:260
	s_lshl_b64 s[2:3], s[2:3], 2
	s_add_u32 s7, s12, s2
	s_addc_u32 s8, s13, s3
	s_mul_hi_u32 s3, s18, s16
	s_mul_i32 s2, s18, s16
	s_lshl_b64 s[2:3], s[2:3], 2
	s_lshl_b32 s4, s30, 2
	v_cndmask_b32_e64 v2, 0, 1, s[0:1]
	s_add_i32 s9, s4, 0x108
	s_mov_b64 s[4:5], 0
	v_cmp_ne_u32_e64 s[0:1], 1, v2
	v_mov_b32_e32 v7, s3
	v_mov_b32_e32 v8, s10
	s_branch .LBB44_30
.LBB44_29:                              ;   in Loop: Header=BB44_30 Depth=1
	v_add_co_u32_e32 v2, vcc, s6, v2
	v_addc_co_u32_e32 v3, vcc, v8, v3, vcc
	v_add_u32_e32 v0, s17, v0
	v_cmp_le_u32_e32 vcc, s16, v0
	s_waitcnt lgkmcnt(0)
	v_mul_f32_e32 v4, v6, v9
	s_or_b64 s[4:5], vcc, s[4:5]
	global_store_dword v[2:3], v4, off
	s_andn2_b64 exec, exec, s[4:5]
	s_cbranch_execz .LBB44_33
.LBB44_30:                              ; =>This Loop Header: Depth=1
                                        ;     Child Loop BB44_32 Depth 2
	s_and_b64 vcc, exec, s[0:1]
	v_lshlrev_b64 v[2:3], 2, v[0:1]
	v_mov_b32_e32 v9, v1
	s_cbranch_vccnz .LBB44_29
; %bb.31:                               ;   in Loop: Header=BB44_30 Depth=1
	v_mov_b32_e32 v5, s8
	v_add_co_u32_e32 v4, vcc, s7, v2
	v_addc_co_u32_e32 v5, vcc, v5, v3, vcc
	v_mov_b32_e32 v9, 0
	s_mov_b32 s3, s9
	s_mov_b32 s10, s30
.LBB44_32:                              ;   Parent Loop BB44_30 Depth=1
                                        ; =>  This Inner Loop Header: Depth=2
	global_load_dword v10, v[4:5], off
	v_mov_b32_e32 v11, s3
	ds_read_b32 v11, v11
	s_add_i32 s10, s10, 1
	v_add_co_u32_e32 v4, vcc, s2, v4
	s_add_i32 s3, s3, 4
	v_addc_co_u32_e32 v5, vcc, v5, v7, vcc
	s_cmp_ge_u32 s10, s19
	s_waitcnt vmcnt(0) lgkmcnt(0)
	v_fmac_f32_e32 v9, v11, v10
	s_cbranch_scc0 .LBB44_32
	s_branch .LBB44_29
.LBB44_33:
	s_endpgm
.LBB44_34:
	v_lshlrev_b32_e32 v8, 2, v7
	ds_read_b32 v8, v8
	s_or_b64 exec, exec, s[4:5]
	v_cmp_gt_u32_e64 s[4:5], 32, v0
	s_and_saveexec_b64 s[6:7], s[4:5]
	s_cbranch_execz .LBB44_15
.LBB44_35:
	s_waitcnt lgkmcnt(0)
	ds_bpermute_b32 v9, v2, v8
	v_max_f32_e32 v8, v8, v8
	s_waitcnt lgkmcnt(0)
	v_max_f32_e32 v9, v9, v9
	v_max_f32_e32 v8, v8, v9
	ds_bpermute_b32 v9, v3, v8
	s_waitcnt lgkmcnt(0)
	v_max_f32_e32 v9, v9, v9
	v_max_f32_e32 v8, v8, v9
	ds_bpermute_b32 v9, v4, v8
	;; [unrolled: 4-line block ×4, first 2 shown]
	s_waitcnt lgkmcnt(0)
	v_max_f32_e32 v9, v9, v9
	v_max_f32_e32 v8, v8, v9
	s_or_b64 exec, exec, s[6:7]
	v_cmp_eq_u32_e64 s[6:7], 0, v0
	s_and_saveexec_b64 s[8:9], s[6:7]
	s_cbranch_execnz .LBB44_16
	s_branch .LBB44_17
.LBB44_36:
	v_lshlrev_b32_e32 v1, 2, v7
	ds_read_b32 v1, v1 offset:128
	s_or_b64 exec, exec, s[0:1]
	s_and_saveexec_b64 s[0:1], s[4:5]
	s_cbranch_execz .LBB44_25
.LBB44_37:
	s_waitcnt lgkmcnt(0)
	ds_bpermute_b32 v2, v2, v1
	s_waitcnt lgkmcnt(0)
	v_add_f32_e32 v1, v1, v2
	ds_bpermute_b32 v2, v3, v1
	s_waitcnt lgkmcnt(0)
	v_add_f32_e32 v1, v1, v2
	;; [unrolled: 3-line block ×5, first 2 shown]
	s_or_b64 exec, exec, s[0:1]
	s_and_saveexec_b64 s[0:1], s[6:7]
	s_cbranch_execnz .LBB44_26
	s_branch .LBB44_27
.LBB44_38:
	v_mov_b32_e32 v4, s0
	s_branch .LBB44_2
	.section	.rodata,"a",@progbits
	.p2align	6, 0x0
	.amdhsa_kernel gemma_attention
		.amdhsa_group_segment_fixed_size 264
		.amdhsa_private_segment_fixed_size 0
		.amdhsa_kernarg_size 312
		.amdhsa_user_sgpr_count 6
		.amdhsa_user_sgpr_private_segment_buffer 1
		.amdhsa_user_sgpr_dispatch_ptr 0
		.amdhsa_user_sgpr_queue_ptr 0
		.amdhsa_user_sgpr_kernarg_segment_ptr 1
		.amdhsa_user_sgpr_dispatch_id 0
		.amdhsa_user_sgpr_flat_scratch_init 0
		.amdhsa_user_sgpr_kernarg_preload_length 0
		.amdhsa_user_sgpr_kernarg_preload_offset 0
		.amdhsa_user_sgpr_private_segment_size 0
		.amdhsa_uses_dynamic_stack 0
		.amdhsa_system_sgpr_private_segment_wavefront_offset 0
		.amdhsa_system_sgpr_workgroup_id_x 1
		.amdhsa_system_sgpr_workgroup_id_y 0
		.amdhsa_system_sgpr_workgroup_id_z 0
		.amdhsa_system_sgpr_workgroup_info 0
		.amdhsa_system_vgpr_workitem_id 0
		.amdhsa_next_free_vgpr 16
		.amdhsa_next_free_sgpr 34
		.amdhsa_accum_offset 16
		.amdhsa_reserve_vcc 1
		.amdhsa_reserve_flat_scratch 0
		.amdhsa_float_round_mode_32 0
		.amdhsa_float_round_mode_16_64 0
		.amdhsa_float_denorm_mode_32 3
		.amdhsa_float_denorm_mode_16_64 3
		.amdhsa_dx10_clamp 1
		.amdhsa_ieee_mode 1
		.amdhsa_fp16_overflow 0
		.amdhsa_tg_split 0
		.amdhsa_exception_fp_ieee_invalid_op 0
		.amdhsa_exception_fp_denorm_src 0
		.amdhsa_exception_fp_ieee_div_zero 0
		.amdhsa_exception_fp_ieee_overflow 0
		.amdhsa_exception_fp_ieee_underflow 0
		.amdhsa_exception_fp_ieee_inexact 0
		.amdhsa_exception_int_div_zero 0
	.end_amdhsa_kernel
	.text
.Lfunc_end44:
	.size	gemma_attention, .Lfunc_end44-gemma_attention
                                        ; -- End function
	.section	.AMDGPU.csdata,"",@progbits
; Kernel info:
; codeLenInByte = 2068
; NumSgprs: 38
; NumVgprs: 16
; NumAgprs: 0
; TotalNumVgprs: 16
; ScratchSize: 0
; MemoryBound: 0
; FloatMode: 240
; IeeeMode: 1
; LDSByteSize: 264 bytes/workgroup (compile time only)
; SGPRBlocks: 4
; VGPRBlocks: 1
; NumSGPRsForWavesPerEU: 38
; NumVGPRsForWavesPerEU: 16
; AccumOffset: 16
; Occupancy: 8
; WaveLimiterHint : 0
; COMPUTE_PGM_RSRC2:SCRATCH_EN: 0
; COMPUTE_PGM_RSRC2:USER_SGPR: 6
; COMPUTE_PGM_RSRC2:TRAP_HANDLER: 0
; COMPUTE_PGM_RSRC2:TGID_X_EN: 1
; COMPUTE_PGM_RSRC2:TGID_Y_EN: 0
; COMPUTE_PGM_RSRC2:TGID_Z_EN: 0
; COMPUTE_PGM_RSRC2:TIDIG_COMP_CNT: 0
; COMPUTE_PGM_RSRC3_GFX90A:ACCUM_OFFSET: 3
; COMPUTE_PGM_RSRC3_GFX90A:TG_SPLIT: 0
	.text
	.protected	deinterleave_qgate      ; -- Begin function deinterleave_qgate
	.globl	deinterleave_qgate
	.p2align	8
	.type	deinterleave_qgate,@function
deinterleave_qgate:                     ; @deinterleave_qgate
; %bb.0:
	s_load_dword s0, s[4:5], 0x2c
	s_load_dwordx2 s[8:9], s[4:5], 0x18
	s_waitcnt lgkmcnt(0)
	s_and_b32 s0, s0, 0xffff
	s_mul_i32 s6, s6, s0
	v_add_u32_e32 v0, s6, v0
	s_mul_i32 s0, s9, s8
	v_cmp_gt_u32_e32 vcc, s0, v0
	s_and_saveexec_b64 s[0:1], vcc
	s_cbranch_execz .LBB45_2
; %bb.1:
	v_cvt_f32_u32_e32 v1, s8
	s_load_dwordx4 s[0:3], s[4:5], 0x0
	s_load_dwordx2 s[6:7], s[4:5], 0x10
	s_sub_i32 s4, 0, s8
	v_rcp_iflag_f32_e32 v1, v1
	s_waitcnt lgkmcnt(0)
	v_mov_b32_e32 v8, s1
	v_mul_f32_e32 v1, 0x4f7ffffe, v1
	v_cvt_u32_f32_e32 v2, v1
	v_mov_b32_e32 v1, 0
	v_mul_lo_u32 v3, s4, v2
	v_mul_hi_u32 v3, v2, v3
	v_add_u32_e32 v2, v2, v3
	v_mul_hi_u32 v2, v0, v2
	v_mul_lo_u32 v3, v2, s8
	v_sub_u32_e32 v3, v0, v3
	v_add_u32_e32 v4, 1, v2
	v_cmp_le_u32_e32 vcc, s8, v3
	v_cndmask_b32_e32 v2, v2, v4, vcc
	v_subrev_u32_e32 v4, s8, v3
	v_cndmask_b32_e32 v3, v3, v4, vcc
	v_add_u32_e32 v4, 1, v2
	v_cmp_le_u32_e32 vcc, s8, v3
	v_cndmask_b32_e32 v2, v2, v4, vcc
	v_mul_lo_u32 v2, v2, s8
	v_sub_u32_e32 v3, v0, v2
	v_lshl_add_u32 v2, v2, 1, v3
	v_mov_b32_e32 v3, v1
	v_lshlrev_b64 v[4:5], 2, v[2:3]
	v_mov_b32_e32 v3, s1
	v_add_co_u32_e32 v4, vcc, s0, v4
	v_addc_co_u32_e32 v5, vcc, v3, v5, vcc
	global_load_dword v3, v[4:5], off
	v_lshlrev_b64 v[4:5], 2, v[0:1]
	v_mov_b32_e32 v0, s3
	v_add_co_u32_e32 v6, vcc, s2, v4
	v_addc_co_u32_e32 v7, vcc, v0, v5, vcc
	v_add_u32_e32 v0, s8, v2
	v_lshlrev_b64 v[0:1], 2, v[0:1]
	v_add_co_u32_e32 v0, vcc, s0, v0
	v_addc_co_u32_e32 v1, vcc, v8, v1, vcc
	s_waitcnt vmcnt(0)
	global_store_dword v[6:7], v3, off
	global_load_dword v2, v[0:1], off
	v_mov_b32_e32 v1, s7
	v_add_co_u32_e32 v0, vcc, s6, v4
	v_addc_co_u32_e32 v1, vcc, v1, v5, vcc
	s_waitcnt vmcnt(0)
	global_store_dword v[0:1], v2, off
.LBB45_2:
	s_endpgm
	.section	.rodata,"a",@progbits
	.p2align	6, 0x0
	.amdhsa_kernel deinterleave_qgate
		.amdhsa_group_segment_fixed_size 0
		.amdhsa_private_segment_fixed_size 0
		.amdhsa_kernarg_size 288
		.amdhsa_user_sgpr_count 6
		.amdhsa_user_sgpr_private_segment_buffer 1
		.amdhsa_user_sgpr_dispatch_ptr 0
		.amdhsa_user_sgpr_queue_ptr 0
		.amdhsa_user_sgpr_kernarg_segment_ptr 1
		.amdhsa_user_sgpr_dispatch_id 0
		.amdhsa_user_sgpr_flat_scratch_init 0
		.amdhsa_user_sgpr_kernarg_preload_length 0
		.amdhsa_user_sgpr_kernarg_preload_offset 0
		.amdhsa_user_sgpr_private_segment_size 0
		.amdhsa_uses_dynamic_stack 0
		.amdhsa_system_sgpr_private_segment_wavefront_offset 0
		.amdhsa_system_sgpr_workgroup_id_x 1
		.amdhsa_system_sgpr_workgroup_id_y 0
		.amdhsa_system_sgpr_workgroup_id_z 0
		.amdhsa_system_sgpr_workgroup_info 0
		.amdhsa_system_vgpr_workitem_id 0
		.amdhsa_next_free_vgpr 9
		.amdhsa_next_free_sgpr 10
		.amdhsa_accum_offset 12
		.amdhsa_reserve_vcc 1
		.amdhsa_reserve_flat_scratch 0
		.amdhsa_float_round_mode_32 0
		.amdhsa_float_round_mode_16_64 0
		.amdhsa_float_denorm_mode_32 3
		.amdhsa_float_denorm_mode_16_64 3
		.amdhsa_dx10_clamp 1
		.amdhsa_ieee_mode 1
		.amdhsa_fp16_overflow 0
		.amdhsa_tg_split 0
		.amdhsa_exception_fp_ieee_invalid_op 0
		.amdhsa_exception_fp_denorm_src 0
		.amdhsa_exception_fp_ieee_div_zero 0
		.amdhsa_exception_fp_ieee_overflow 0
		.amdhsa_exception_fp_ieee_underflow 0
		.amdhsa_exception_fp_ieee_inexact 0
		.amdhsa_exception_int_div_zero 0
	.end_amdhsa_kernel
	.text
.Lfunc_end45:
	.size	deinterleave_qgate, .Lfunc_end45-deinterleave_qgate
                                        ; -- End function
	.section	.AMDGPU.csdata,"",@progbits
; Kernel info:
; codeLenInByte = 316
; NumSgprs: 14
; NumVgprs: 9
; NumAgprs: 0
; TotalNumVgprs: 9
; ScratchSize: 0
; MemoryBound: 0
; FloatMode: 240
; IeeeMode: 1
; LDSByteSize: 0 bytes/workgroup (compile time only)
; SGPRBlocks: 1
; VGPRBlocks: 1
; NumSGPRsForWavesPerEU: 14
; NumVGPRsForWavesPerEU: 9
; AccumOffset: 12
; Occupancy: 8
; WaveLimiterHint : 0
; COMPUTE_PGM_RSRC2:SCRATCH_EN: 0
; COMPUTE_PGM_RSRC2:USER_SGPR: 6
; COMPUTE_PGM_RSRC2:TRAP_HANDLER: 0
; COMPUTE_PGM_RSRC2:TGID_X_EN: 1
; COMPUTE_PGM_RSRC2:TGID_Y_EN: 0
; COMPUTE_PGM_RSRC2:TGID_Z_EN: 0
; COMPUTE_PGM_RSRC2:TIDIG_COMP_CNT: 0
; COMPUTE_PGM_RSRC3_GFX90A:ACCUM_OFFSET: 2
; COMPUTE_PGM_RSRC3_GFX90A:TG_SPLIT: 0
	.text
	.p2alignl 6, 3212836864
	.fill 256, 4, 3212836864
	.type	__hip_cuid_1f5bd30408136436,@object ; @__hip_cuid_1f5bd30408136436
	.section	.bss,"aw",@nobits
	.globl	__hip_cuid_1f5bd30408136436
__hip_cuid_1f5bd30408136436:
	.byte	0                               ; 0x0
	.size	__hip_cuid_1f5bd30408136436, 1

	.ident	"AMD clang version 19.0.0git (https://github.com/RadeonOpenCompute/llvm-project roc-6.4.0 25133 c7fe45cf4b819c5991fe208aaa96edf142730f1d)"
	.section	".note.GNU-stack","",@progbits
	.addrsig
	.addrsig_sym __hip_cuid_1f5bd30408136436
	.amdgpu_metadata
---
amdhsa.kernels:
  - .agpr_count:     0
    .args:
      - .address_space:  global
        .offset:         0
        .size:           8
        .value_kind:     global_buffer
      - .address_space:  global
        .offset:         8
        .size:           8
        .value_kind:     global_buffer
      - .address_space:  global
        .offset:         16
        .size:           8
        .value_kind:     global_buffer
      - .offset:         24
        .size:           8
        .value_kind:     by_value
      - .offset:         32
        .size:           4
        .value_kind:     hidden_block_count_x
      - .offset:         36
        .size:           4
        .value_kind:     hidden_block_count_y
      - .offset:         40
        .size:           4
        .value_kind:     hidden_block_count_z
      - .offset:         44
        .size:           2
        .value_kind:     hidden_group_size_x
      - .offset:         46
        .size:           2
        .value_kind:     hidden_group_size_y
      - .offset:         48
        .size:           2
        .value_kind:     hidden_group_size_z
      - .offset:         50
        .size:           2
        .value_kind:     hidden_remainder_x
      - .offset:         52
        .size:           2
        .value_kind:     hidden_remainder_y
      - .offset:         54
        .size:           2
        .value_kind:     hidden_remainder_z
      - .offset:         72
        .size:           8
        .value_kind:     hidden_global_offset_x
      - .offset:         80
        .size:           8
        .value_kind:     hidden_global_offset_y
      - .offset:         88
        .size:           8
        .value_kind:     hidden_global_offset_z
      - .offset:         96
        .size:           2
        .value_kind:     hidden_grid_dims
    .group_segment_fixed_size: 132
    .kernarg_segment_align: 8
    .kernarg_segment_size: 288
    .language:       OpenCL C
    .language_version:
      - 2
      - 0
    .max_flat_workgroup_size: 1024
    .name:           rms_norm
    .private_segment_fixed_size: 0
    .sgpr_count:     23
    .sgpr_spill_count: 0
    .symbol:         rms_norm.kd
    .uniform_work_group_size: 1
    .uses_dynamic_stack: false
    .vgpr_count:     14
    .vgpr_spill_count: 0
    .wavefront_size: 64
  - .agpr_count:     0
    .args:
      - .address_space:  global
        .offset:         0
        .size:           8
        .value_kind:     global_buffer
      - .address_space:  global
        .offset:         8
        .size:           8
        .value_kind:     global_buffer
      - .address_space:  global
        .offset:         16
        .size:           8
        .value_kind:     global_buffer
      - .offset:         24
        .size:           8
        .value_kind:     by_value
      - .offset:         32
        .size:           4
        .value_kind:     hidden_block_count_x
      - .offset:         36
        .size:           4
        .value_kind:     hidden_block_count_y
      - .offset:         40
        .size:           4
        .value_kind:     hidden_block_count_z
      - .offset:         44
        .size:           2
        .value_kind:     hidden_group_size_x
      - .offset:         46
        .size:           2
        .value_kind:     hidden_group_size_y
      - .offset:         48
        .size:           2
        .value_kind:     hidden_group_size_z
      - .offset:         50
        .size:           2
        .value_kind:     hidden_remainder_x
      - .offset:         52
        .size:           2
        .value_kind:     hidden_remainder_y
      - .offset:         54
        .size:           2
        .value_kind:     hidden_remainder_z
      - .offset:         72
        .size:           8
        .value_kind:     hidden_global_offset_x
      - .offset:         80
        .size:           8
        .value_kind:     hidden_global_offset_y
      - .offset:         88
        .size:           8
        .value_kind:     hidden_global_offset_z
      - .offset:         96
        .size:           2
        .value_kind:     hidden_grid_dims
    .group_segment_fixed_size: 132
    .kernarg_segment_align: 8
    .kernarg_segment_size: 288
    .language:       OpenCL C
    .language_version:
      - 2
      - 0
    .max_flat_workgroup_size: 1024
    .name:           rms_norm_residual
    .private_segment_fixed_size: 0
    .sgpr_count:     23
    .sgpr_spill_count: 0
    .symbol:         rms_norm_residual.kd
    .uniform_work_group_size: 1
    .uses_dynamic_stack: false
    .vgpr_count:     15
    .vgpr_spill_count: 0
    .wavefront_size: 64
  - .agpr_count:     0
    .args:
      - .address_space:  global
        .offset:         0
        .size:           8
        .value_kind:     global_buffer
      - .address_space:  global
        .offset:         8
        .size:           8
        .value_kind:     global_buffer
      - .address_space:  global
        .offset:         16
        .size:           8
        .value_kind:     global_buffer
      - .address_space:  global
        .offset:         24
        .size:           8
        .value_kind:     global_buffer
      - .offset:         32
        .size:           8
        .value_kind:     by_value
      - .offset:         40
        .size:           4
        .value_kind:     hidden_block_count_x
      - .offset:         44
        .size:           4
        .value_kind:     hidden_block_count_y
      - .offset:         48
        .size:           4
        .value_kind:     hidden_block_count_z
      - .offset:         52
        .size:           2
        .value_kind:     hidden_group_size_x
      - .offset:         54
        .size:           2
        .value_kind:     hidden_group_size_y
      - .offset:         56
        .size:           2
        .value_kind:     hidden_group_size_z
      - .offset:         58
        .size:           2
        .value_kind:     hidden_remainder_x
      - .offset:         60
        .size:           2
        .value_kind:     hidden_remainder_y
      - .offset:         62
        .size:           2
        .value_kind:     hidden_remainder_z
      - .offset:         80
        .size:           8
        .value_kind:     hidden_global_offset_x
      - .offset:         88
        .size:           8
        .value_kind:     hidden_global_offset_y
      - .offset:         96
        .size:           8
        .value_kind:     hidden_global_offset_z
      - .offset:         104
        .size:           2
        .value_kind:     hidden_grid_dims
    .group_segment_fixed_size: 132
    .kernarg_segment_align: 8
    .kernarg_segment_size: 296
    .language:       OpenCL C
    .language_version:
      - 2
      - 0
    .max_flat_workgroup_size: 1024
    .name:           rms_norm_residual_scale
    .private_segment_fixed_size: 0
    .sgpr_count:     25
    .sgpr_spill_count: 0
    .symbol:         rms_norm_residual_scale.kd
    .uniform_work_group_size: 1
    .uses_dynamic_stack: false
    .vgpr_count:     15
    .vgpr_spill_count: 0
    .wavefront_size: 64
  - .agpr_count:     0
    .args:
      - .address_space:  global
        .offset:         0
        .size:           8
        .value_kind:     global_buffer
      - .address_space:  global
        .offset:         8
        .size:           8
        .value_kind:     global_buffer
      - .address_space:  global
        .offset:         16
        .size:           8
        .value_kind:     global_buffer
      - .address_space:  global
        .offset:         24
        .size:           8
        .value_kind:     global_buffer
      - .offset:         32
        .size:           20
        .value_kind:     by_value
      - .offset:         56
        .size:           4
        .value_kind:     hidden_block_count_x
      - .offset:         60
        .size:           4
        .value_kind:     hidden_block_count_y
      - .offset:         64
        .size:           4
        .value_kind:     hidden_block_count_z
      - .offset:         68
        .size:           2
        .value_kind:     hidden_group_size_x
      - .offset:         70
        .size:           2
        .value_kind:     hidden_group_size_y
      - .offset:         72
        .size:           2
        .value_kind:     hidden_group_size_z
      - .offset:         74
        .size:           2
        .value_kind:     hidden_remainder_x
      - .offset:         76
        .size:           2
        .value_kind:     hidden_remainder_y
      - .offset:         78
        .size:           2
        .value_kind:     hidden_remainder_z
      - .offset:         96
        .size:           8
        .value_kind:     hidden_global_offset_x
      - .offset:         104
        .size:           8
        .value_kind:     hidden_global_offset_y
      - .offset:         112
        .size:           8
        .value_kind:     hidden_global_offset_z
      - .offset:         120
        .size:           2
        .value_kind:     hidden_grid_dims
      - .offset:         176
        .size:           4
        .value_kind:     hidden_dynamic_lds_size
    .group_segment_fixed_size: 132
    .kernarg_segment_align: 8
    .kernarg_segment_size: 312
    .language:       OpenCL C
    .language_version:
      - 2
      - 0
    .max_flat_workgroup_size: 1024
    .name:           rms_norm_rope
    .private_segment_fixed_size: 0
    .sgpr_count:     41
    .sgpr_spill_count: 0
    .symbol:         rms_norm_rope.kd
    .uniform_work_group_size: 1
    .uses_dynamic_stack: false
    .vgpr_count:     38
    .vgpr_spill_count: 0
    .wavefront_size: 64
  - .agpr_count:     0
    .args:
      - .address_space:  global
        .offset:         0
        .size:           8
        .value_kind:     global_buffer
      - .address_space:  global
        .offset:         8
        .size:           8
        .value_kind:     global_buffer
      - .address_space:  global
        .offset:         16
        .size:           8
        .value_kind:     global_buffer
      - .offset:         24
        .size:           24
        .value_kind:     by_value
      - .offset:         48
        .size:           4
        .value_kind:     hidden_block_count_x
      - .offset:         52
        .size:           4
        .value_kind:     hidden_block_count_y
      - .offset:         56
        .size:           4
        .value_kind:     hidden_block_count_z
      - .offset:         60
        .size:           2
        .value_kind:     hidden_group_size_x
      - .offset:         62
        .size:           2
        .value_kind:     hidden_group_size_y
      - .offset:         64
        .size:           2
        .value_kind:     hidden_group_size_z
      - .offset:         66
        .size:           2
        .value_kind:     hidden_remainder_x
      - .offset:         68
        .size:           2
        .value_kind:     hidden_remainder_y
      - .offset:         70
        .size:           2
        .value_kind:     hidden_remainder_z
      - .offset:         88
        .size:           8
        .value_kind:     hidden_global_offset_x
      - .offset:         96
        .size:           8
        .value_kind:     hidden_global_offset_y
      - .offset:         104
        .size:           8
        .value_kind:     hidden_global_offset_z
      - .offset:         112
        .size:           2
        .value_kind:     hidden_grid_dims
    .group_segment_fixed_size: 128
    .kernarg_segment_align: 8
    .kernarg_segment_size: 304
    .language:       OpenCL C
    .language_version:
      - 2
      - 0
    .max_flat_workgroup_size: 1024
    .name:           dmmv_q4k
    .private_segment_fixed_size: 0
    .sgpr_count:     30
    .sgpr_spill_count: 0
    .symbol:         dmmv_q4k.kd
    .uniform_work_group_size: 1
    .uses_dynamic_stack: false
    .vgpr_count:     18
    .vgpr_spill_count: 0
    .wavefront_size: 64
  - .agpr_count:     0
    .args:
      - .address_space:  global
        .offset:         0
        .size:           8
        .value_kind:     global_buffer
      - .address_space:  global
        .offset:         8
        .size:           8
        .value_kind:     global_buffer
      - .address_space:  global
        .offset:         16
        .size:           8
        .value_kind:     global_buffer
      - .offset:         24
        .size:           4
        .value_kind:     by_value
      - .offset:         32
        .size:           4
        .value_kind:     hidden_block_count_x
      - .offset:         36
        .size:           4
        .value_kind:     hidden_block_count_y
      - .offset:         40
        .size:           4
        .value_kind:     hidden_block_count_z
      - .offset:         44
        .size:           2
        .value_kind:     hidden_group_size_x
      - .offset:         46
        .size:           2
        .value_kind:     hidden_group_size_y
      - .offset:         48
        .size:           2
        .value_kind:     hidden_group_size_z
      - .offset:         50
        .size:           2
        .value_kind:     hidden_remainder_x
      - .offset:         52
        .size:           2
        .value_kind:     hidden_remainder_y
      - .offset:         54
        .size:           2
        .value_kind:     hidden_remainder_z
      - .offset:         72
        .size:           8
        .value_kind:     hidden_global_offset_x
      - .offset:         80
        .size:           8
        .value_kind:     hidden_global_offset_y
      - .offset:         88
        .size:           8
        .value_kind:     hidden_global_offset_z
      - .offset:         96
        .size:           2
        .value_kind:     hidden_grid_dims
    .group_segment_fixed_size: 0
    .kernarg_segment_align: 8
    .kernarg_segment_size: 288
    .language:       OpenCL C
    .language_version:
      - 2
      - 0
    .max_flat_workgroup_size: 1024
    .name:           swiglu
    .private_segment_fixed_size: 0
    .sgpr_count:     12
    .sgpr_spill_count: 0
    .symbol:         swiglu.kd
    .uniform_work_group_size: 1
    .uses_dynamic_stack: false
    .vgpr_count:     11
    .vgpr_spill_count: 0
    .wavefront_size: 64
  - .agpr_count:     0
    .args:
      - .address_space:  global
        .offset:         0
        .size:           8
        .value_kind:     global_buffer
      - .address_space:  global
        .offset:         8
        .size:           8
        .value_kind:     global_buffer
      - .offset:         16
        .size:           8
        .value_kind:     by_value
      - .offset:         24
        .size:           4
        .value_kind:     hidden_block_count_x
      - .offset:         28
        .size:           4
        .value_kind:     hidden_block_count_y
      - .offset:         32
        .size:           4
        .value_kind:     hidden_block_count_z
      - .offset:         36
        .size:           2
        .value_kind:     hidden_group_size_x
      - .offset:         38
        .size:           2
        .value_kind:     hidden_group_size_y
      - .offset:         40
        .size:           2
        .value_kind:     hidden_group_size_z
      - .offset:         42
        .size:           2
        .value_kind:     hidden_remainder_x
      - .offset:         44
        .size:           2
        .value_kind:     hidden_remainder_y
      - .offset:         46
        .size:           2
        .value_kind:     hidden_remainder_z
      - .offset:         64
        .size:           8
        .value_kind:     hidden_global_offset_x
      - .offset:         72
        .size:           8
        .value_kind:     hidden_global_offset_y
      - .offset:         80
        .size:           8
        .value_kind:     hidden_global_offset_z
      - .offset:         88
        .size:           2
        .value_kind:     hidden_grid_dims
    .group_segment_fixed_size: 0
    .kernarg_segment_align: 8
    .kernarg_segment_size: 280
    .language:       OpenCL C
    .language_version:
      - 2
      - 0
    .max_flat_workgroup_size: 1024
    .name:           scale_accumulate
    .private_segment_fixed_size: 0
    .sgpr_count:     11
    .sgpr_spill_count: 0
    .symbol:         scale_accumulate.kd
    .uniform_work_group_size: 1
    .uses_dynamic_stack: false
    .vgpr_count:     4
    .vgpr_spill_count: 0
    .wavefront_size: 64
  - .agpr_count:     0
    .args:
      - .address_space:  global
        .offset:         0
        .size:           8
        .value_kind:     global_buffer
      - .address_space:  global
        .offset:         8
        .size:           8
        .value_kind:     global_buffer
      - .address_space:  global
        .offset:         16
        .size:           8
        .value_kind:     global_buffer
      - .offset:         24
        .size:           4
        .value_kind:     by_value
      - .offset:         32
        .size:           4
        .value_kind:     hidden_block_count_x
      - .offset:         36
        .size:           4
        .value_kind:     hidden_block_count_y
      - .offset:         40
        .size:           4
        .value_kind:     hidden_block_count_z
      - .offset:         44
        .size:           2
        .value_kind:     hidden_group_size_x
      - .offset:         46
        .size:           2
        .value_kind:     hidden_group_size_y
      - .offset:         48
        .size:           2
        .value_kind:     hidden_group_size_z
      - .offset:         50
        .size:           2
        .value_kind:     hidden_remainder_x
      - .offset:         52
        .size:           2
        .value_kind:     hidden_remainder_y
      - .offset:         54
        .size:           2
        .value_kind:     hidden_remainder_z
      - .offset:         72
        .size:           8
        .value_kind:     hidden_global_offset_x
      - .offset:         80
        .size:           8
        .value_kind:     hidden_global_offset_y
      - .offset:         88
        .size:           8
        .value_kind:     hidden_global_offset_z
      - .offset:         96
        .size:           2
        .value_kind:     hidden_grid_dims
    .group_segment_fixed_size: 0
    .kernarg_segment_align: 8
    .kernarg_segment_size: 288
    .language:       OpenCL C
    .language_version:
      - 2
      - 0
    .max_flat_workgroup_size: 1024
    .name:           sigmoid_scale_acc
    .private_segment_fixed_size: 0
    .sgpr_count:     12
    .sgpr_spill_count: 0
    .symbol:         sigmoid_scale_acc.kd
    .uniform_work_group_size: 1
    .uses_dynamic_stack: false
    .vgpr_count:     10
    .vgpr_spill_count: 0
    .wavefront_size: 64
  - .agpr_count:     0
    .args:
      - .address_space:  global
        .offset:         0
        .size:           8
        .value_kind:     global_buffer
      - .address_space:  global
        .offset:         8
        .size:           8
        .value_kind:     global_buffer
      - .address_space:  global
        .offset:         16
        .size:           8
        .value_kind:     global_buffer
      - .offset:         24
        .size:           24
        .value_kind:     by_value
      - .offset:         48
        .size:           4
        .value_kind:     hidden_block_count_x
      - .offset:         52
        .size:           4
        .value_kind:     hidden_block_count_y
      - .offset:         56
        .size:           4
        .value_kind:     hidden_block_count_z
      - .offset:         60
        .size:           2
        .value_kind:     hidden_group_size_x
      - .offset:         62
        .size:           2
        .value_kind:     hidden_group_size_y
      - .offset:         64
        .size:           2
        .value_kind:     hidden_group_size_z
      - .offset:         66
        .size:           2
        .value_kind:     hidden_remainder_x
      - .offset:         68
        .size:           2
        .value_kind:     hidden_remainder_y
      - .offset:         70
        .size:           2
        .value_kind:     hidden_remainder_z
      - .offset:         88
        .size:           8
        .value_kind:     hidden_global_offset_x
      - .offset:         96
        .size:           8
        .value_kind:     hidden_global_offset_y
      - .offset:         104
        .size:           8
        .value_kind:     hidden_global_offset_z
      - .offset:         112
        .size:           2
        .value_kind:     hidden_grid_dims
    .group_segment_fixed_size: 128
    .kernarg_segment_align: 8
    .kernarg_segment_size: 304
    .language:       OpenCL C
    .language_version:
      - 2
      - 0
    .max_flat_workgroup_size: 1024
    .name:           dmmv_f32
    .private_segment_fixed_size: 0
    .sgpr_count:     24
    .sgpr_spill_count: 0
    .symbol:         dmmv_f32.kd
    .uniform_work_group_size: 1
    .uses_dynamic_stack: false
    .vgpr_count:     12
    .vgpr_spill_count: 0
    .wavefront_size: 64
  - .agpr_count:     0
    .args:
      - .address_space:  global
        .offset:         0
        .size:           8
        .value_kind:     global_buffer
      - .address_space:  global
        .offset:         8
        .size:           8
        .value_kind:     global_buffer
      - .address_space:  global
        .offset:         16
        .size:           8
        .value_kind:     global_buffer
      - .offset:         24
        .size:           24
        .value_kind:     by_value
      - .offset:         48
        .size:           4
        .value_kind:     hidden_block_count_x
      - .offset:         52
        .size:           4
        .value_kind:     hidden_block_count_y
      - .offset:         56
        .size:           4
        .value_kind:     hidden_block_count_z
      - .offset:         60
        .size:           2
        .value_kind:     hidden_group_size_x
      - .offset:         62
        .size:           2
        .value_kind:     hidden_group_size_y
      - .offset:         64
        .size:           2
        .value_kind:     hidden_group_size_z
      - .offset:         66
        .size:           2
        .value_kind:     hidden_remainder_x
      - .offset:         68
        .size:           2
        .value_kind:     hidden_remainder_y
      - .offset:         70
        .size:           2
        .value_kind:     hidden_remainder_z
      - .offset:         88
        .size:           8
        .value_kind:     hidden_global_offset_x
      - .offset:         96
        .size:           8
        .value_kind:     hidden_global_offset_y
      - .offset:         104
        .size:           8
        .value_kind:     hidden_global_offset_z
      - .offset:         112
        .size:           2
        .value_kind:     hidden_grid_dims
    .group_segment_fixed_size: 128
    .kernarg_segment_align: 8
    .kernarg_segment_size: 304
    .language:       OpenCL C
    .language_version:
      - 2
      - 0
    .max_flat_workgroup_size: 1024
    .name:           dmmv_q8_0
    .private_segment_fixed_size: 0
    .sgpr_count:     29
    .sgpr_spill_count: 0
    .symbol:         dmmv_q8_0.kd
    .uniform_work_group_size: 1
    .uses_dynamic_stack: false
    .vgpr_count:     12
    .vgpr_spill_count: 0
    .wavefront_size: 64
  - .agpr_count:     0
    .args:
      - .address_space:  global
        .offset:         0
        .size:           8
        .value_kind:     global_buffer
      - .address_space:  global
        .offset:         8
        .size:           8
        .value_kind:     global_buffer
      - .address_space:  global
        .offset:         16
        .size:           8
        .value_kind:     global_buffer
      - .offset:         24
        .size:           24
        .value_kind:     by_value
      - .offset:         48
        .size:           4
        .value_kind:     hidden_block_count_x
      - .offset:         52
        .size:           4
        .value_kind:     hidden_block_count_y
      - .offset:         56
        .size:           4
        .value_kind:     hidden_block_count_z
      - .offset:         60
        .size:           2
        .value_kind:     hidden_group_size_x
      - .offset:         62
        .size:           2
        .value_kind:     hidden_group_size_y
      - .offset:         64
        .size:           2
        .value_kind:     hidden_group_size_z
      - .offset:         66
        .size:           2
        .value_kind:     hidden_remainder_x
      - .offset:         68
        .size:           2
        .value_kind:     hidden_remainder_y
      - .offset:         70
        .size:           2
        .value_kind:     hidden_remainder_z
      - .offset:         88
        .size:           8
        .value_kind:     hidden_global_offset_x
      - .offset:         96
        .size:           8
        .value_kind:     hidden_global_offset_y
      - .offset:         104
        .size:           8
        .value_kind:     hidden_global_offset_z
      - .offset:         112
        .size:           2
        .value_kind:     hidden_grid_dims
    .group_segment_fixed_size: 128
    .kernarg_segment_align: 8
    .kernarg_segment_size: 304
    .language:       OpenCL C
    .language_version:
      - 2
      - 0
    .max_flat_workgroup_size: 1024
    .name:           dmmv_q5_1
    .private_segment_fixed_size: 0
    .sgpr_count:     29
    .sgpr_spill_count: 0
    .symbol:         dmmv_q5_1.kd
    .uniform_work_group_size: 1
    .uses_dynamic_stack: false
    .vgpr_count:     14
    .vgpr_spill_count: 0
    .wavefront_size: 64
  - .agpr_count:     0
    .args:
      - .address_space:  global
        .offset:         0
        .size:           8
        .value_kind:     global_buffer
      - .address_space:  global
        .offset:         8
        .size:           8
        .value_kind:     global_buffer
      - .address_space:  global
        .offset:         16
        .size:           8
        .value_kind:     global_buffer
      - .offset:         24
        .size:           24
        .value_kind:     by_value
      - .offset:         48
        .size:           4
        .value_kind:     hidden_block_count_x
      - .offset:         52
        .size:           4
        .value_kind:     hidden_block_count_y
      - .offset:         56
        .size:           4
        .value_kind:     hidden_block_count_z
      - .offset:         60
        .size:           2
        .value_kind:     hidden_group_size_x
      - .offset:         62
        .size:           2
        .value_kind:     hidden_group_size_y
      - .offset:         64
        .size:           2
        .value_kind:     hidden_group_size_z
      - .offset:         66
        .size:           2
        .value_kind:     hidden_remainder_x
      - .offset:         68
        .size:           2
        .value_kind:     hidden_remainder_y
      - .offset:         70
        .size:           2
        .value_kind:     hidden_remainder_z
      - .offset:         88
        .size:           8
        .value_kind:     hidden_global_offset_x
      - .offset:         96
        .size:           8
        .value_kind:     hidden_global_offset_y
      - .offset:         104
        .size:           8
        .value_kind:     hidden_global_offset_z
      - .offset:         112
        .size:           2
        .value_kind:     hidden_grid_dims
    .group_segment_fixed_size: 128
    .kernarg_segment_align: 8
    .kernarg_segment_size: 304
    .language:       OpenCL C
    .language_version:
      - 2
      - 0
    .max_flat_workgroup_size: 1024
    .name:           dmmv_q5k
    .private_segment_fixed_size: 0
    .sgpr_count:     30
    .sgpr_spill_count: 0
    .symbol:         dmmv_q5k.kd
    .uniform_work_group_size: 1
    .uses_dynamic_stack: false
    .vgpr_count:     17
    .vgpr_spill_count: 0
    .wavefront_size: 64
  - .agpr_count:     0
    .args:
      - .address_space:  global
        .offset:         0
        .size:           8
        .value_kind:     global_buffer
      - .address_space:  global
        .offset:         8
        .size:           8
        .value_kind:     global_buffer
      - .address_space:  global
        .offset:         16
        .size:           8
        .value_kind:     global_buffer
      - .offset:         24
        .size:           24
        .value_kind:     by_value
      - .offset:         48
        .size:           4
        .value_kind:     hidden_block_count_x
      - .offset:         52
        .size:           4
        .value_kind:     hidden_block_count_y
      - .offset:         56
        .size:           4
        .value_kind:     hidden_block_count_z
      - .offset:         60
        .size:           2
        .value_kind:     hidden_group_size_x
      - .offset:         62
        .size:           2
        .value_kind:     hidden_group_size_y
      - .offset:         64
        .size:           2
        .value_kind:     hidden_group_size_z
      - .offset:         66
        .size:           2
        .value_kind:     hidden_remainder_x
      - .offset:         68
        .size:           2
        .value_kind:     hidden_remainder_y
      - .offset:         70
        .size:           2
        .value_kind:     hidden_remainder_z
      - .offset:         88
        .size:           8
        .value_kind:     hidden_global_offset_x
      - .offset:         96
        .size:           8
        .value_kind:     hidden_global_offset_y
      - .offset:         104
        .size:           8
        .value_kind:     hidden_global_offset_z
      - .offset:         112
        .size:           2
        .value_kind:     hidden_grid_dims
    .group_segment_fixed_size: 128
    .kernarg_segment_align: 8
    .kernarg_segment_size: 304
    .language:       OpenCL C
    .language_version:
      - 2
      - 0
    .max_flat_workgroup_size: 1024
    .name:           dmmv_q6k
    .private_segment_fixed_size: 0
    .sgpr_count:     32
    .sgpr_spill_count: 0
    .symbol:         dmmv_q6k.kd
    .uniform_work_group_size: 1
    .uses_dynamic_stack: false
    .vgpr_count:     17
    .vgpr_spill_count: 0
    .wavefront_size: 64
  - .agpr_count:     0
    .args:
      - .address_space:  global
        .offset:         0
        .size:           8
        .value_kind:     global_buffer
      - .address_space:  global
        .offset:         8
        .size:           8
        .value_kind:     global_buffer
      - .offset:         16
        .size:           8
        .value_kind:     by_value
    .group_segment_fixed_size: 1536
    .kernarg_segment_align: 8
    .kernarg_segment_size: 24
    .language:       OpenCL C
    .language_version:
      - 2
      - 0
    .max_flat_workgroup_size: 1024
    .name:           softmax_topk
    .private_segment_fixed_size: 0
    .sgpr_count:     25
    .sgpr_spill_count: 0
    .symbol:         softmax_topk.kd
    .uniform_work_group_size: 1
    .uses_dynamic_stack: false
    .vgpr_count:     46
    .vgpr_spill_count: 0
    .wavefront_size: 64
  - .agpr_count:     0
    .args:
      - .address_space:  global
        .offset:         0
        .size:           8
        .value_kind:     global_buffer
      - .address_space:  global
        .offset:         8
        .size:           8
        .value_kind:     global_buffer
      - .address_space:  global
        .offset:         16
        .size:           8
        .value_kind:     global_buffer
      - .offset:         24
        .size:           24
        .value_kind:     by_value
      - .offset:         48
        .size:           4
        .value_kind:     hidden_block_count_x
      - .offset:         52
        .size:           4
        .value_kind:     hidden_block_count_y
      - .offset:         56
        .size:           4
        .value_kind:     hidden_block_count_z
      - .offset:         60
        .size:           2
        .value_kind:     hidden_group_size_x
      - .offset:         62
        .size:           2
        .value_kind:     hidden_group_size_y
      - .offset:         64
        .size:           2
        .value_kind:     hidden_group_size_z
      - .offset:         66
        .size:           2
        .value_kind:     hidden_remainder_x
      - .offset:         68
        .size:           2
        .value_kind:     hidden_remainder_y
      - .offset:         70
        .size:           2
        .value_kind:     hidden_remainder_z
      - .offset:         88
        .size:           8
        .value_kind:     hidden_global_offset_x
      - .offset:         96
        .size:           8
        .value_kind:     hidden_global_offset_y
      - .offset:         104
        .size:           8
        .value_kind:     hidden_global_offset_z
      - .offset:         112
        .size:           2
        .value_kind:     hidden_grid_dims
    .group_segment_fixed_size: 0
    .kernarg_segment_align: 8
    .kernarg_segment_size: 304
    .language:       OpenCL C
    .language_version:
      - 2
      - 0
    .max_flat_workgroup_size: 1024
    .name:           rope
    .private_segment_fixed_size: 0
    .sgpr_count:     59
    .sgpr_spill_count: 0
    .symbol:         rope.kd
    .uniform_work_group_size: 1
    .uses_dynamic_stack: false
    .vgpr_count:     46
    .vgpr_spill_count: 0
    .wavefront_size: 64
  - .agpr_count:     0
    .args:
      - .address_space:  global
        .offset:         0
        .size:           8
        .value_kind:     global_buffer
      - .address_space:  global
        .offset:         8
        .size:           8
        .value_kind:     global_buffer
      - .offset:         16
        .size:           4
        .value_kind:     by_value
      - .offset:         24
        .size:           4
        .value_kind:     hidden_block_count_x
      - .offset:         28
        .size:           4
        .value_kind:     hidden_block_count_y
      - .offset:         32
        .size:           4
        .value_kind:     hidden_block_count_z
      - .offset:         36
        .size:           2
        .value_kind:     hidden_group_size_x
      - .offset:         38
        .size:           2
        .value_kind:     hidden_group_size_y
      - .offset:         40
        .size:           2
        .value_kind:     hidden_group_size_z
      - .offset:         42
        .size:           2
        .value_kind:     hidden_remainder_x
      - .offset:         44
        .size:           2
        .value_kind:     hidden_remainder_y
      - .offset:         46
        .size:           2
        .value_kind:     hidden_remainder_z
      - .offset:         64
        .size:           8
        .value_kind:     hidden_global_offset_x
      - .offset:         72
        .size:           8
        .value_kind:     hidden_global_offset_y
      - .offset:         80
        .size:           8
        .value_kind:     hidden_global_offset_z
      - .offset:         88
        .size:           2
        .value_kind:     hidden_grid_dims
    .group_segment_fixed_size: 256
    .kernarg_segment_align: 8
    .kernarg_segment_size: 280
    .language:       OpenCL C
    .language_version:
      - 2
      - 0
    .max_flat_workgroup_size: 1024
    .name:           argmax
    .private_segment_fixed_size: 0
    .sgpr_count:     17
    .sgpr_spill_count: 0
    .symbol:         argmax.kd
    .uniform_work_group_size: 1
    .uses_dynamic_stack: false
    .vgpr_count:     8
    .vgpr_spill_count: 0
    .wavefront_size: 64
  - .agpr_count:     0
    .args:
      - .address_space:  global
        .offset:         0
        .size:           8
        .value_kind:     global_buffer
      - .address_space:  global
        .offset:         8
        .size:           8
        .value_kind:     global_buffer
      - .address_space:  global
        .offset:         16
        .size:           8
        .value_kind:     global_buffer
      - .offset:         24
        .size:           12
        .value_kind:     by_value
      - .offset:         40
        .size:           4
        .value_kind:     hidden_block_count_x
      - .offset:         44
        .size:           4
        .value_kind:     hidden_block_count_y
      - .offset:         48
        .size:           4
        .value_kind:     hidden_block_count_z
      - .offset:         52
        .size:           2
        .value_kind:     hidden_group_size_x
      - .offset:         54
        .size:           2
        .value_kind:     hidden_group_size_y
      - .offset:         56
        .size:           2
        .value_kind:     hidden_group_size_z
      - .offset:         58
        .size:           2
        .value_kind:     hidden_remainder_x
      - .offset:         60
        .size:           2
        .value_kind:     hidden_remainder_y
      - .offset:         62
        .size:           2
        .value_kind:     hidden_remainder_z
      - .offset:         80
        .size:           8
        .value_kind:     hidden_global_offset_x
      - .offset:         88
        .size:           8
        .value_kind:     hidden_global_offset_y
      - .offset:         96
        .size:           8
        .value_kind:     hidden_global_offset_z
      - .offset:         104
        .size:           2
        .value_kind:     hidden_grid_dims
    .group_segment_fixed_size: 0
    .kernarg_segment_align: 8
    .kernarg_segment_size: 296
    .language:       OpenCL C
    .language_version:
      - 2
      - 0
    .max_flat_workgroup_size: 1024
    .name:           moe_weighted_acc
    .private_segment_fixed_size: 0
    .sgpr_count:     16
    .sgpr_spill_count: 0
    .symbol:         moe_weighted_acc.kd
    .uniform_work_group_size: 1
    .uses_dynamic_stack: false
    .vgpr_count:     8
    .vgpr_spill_count: 0
    .wavefront_size: 64
  - .agpr_count:     0
    .args:
      - .address_space:  global
        .offset:         0
        .size:           8
        .value_kind:     global_buffer
      - .address_space:  global
        .offset:         8
        .size:           8
        .value_kind:     global_buffer
      - .address_space:  global
        .offset:         16
        .size:           8
        .value_kind:     global_buffer
      - .address_space:  global
        .offset:         24
        .size:           8
        .value_kind:     global_buffer
      - .offset:         32
        .size:           12
        .value_kind:     by_value
      - .offset:         48
        .size:           4
        .value_kind:     hidden_block_count_x
      - .offset:         52
        .size:           4
        .value_kind:     hidden_block_count_y
      - .offset:         56
        .size:           4
        .value_kind:     hidden_block_count_z
      - .offset:         60
        .size:           2
        .value_kind:     hidden_group_size_x
      - .offset:         62
        .size:           2
        .value_kind:     hidden_group_size_y
      - .offset:         64
        .size:           2
        .value_kind:     hidden_group_size_z
      - .offset:         66
        .size:           2
        .value_kind:     hidden_remainder_x
      - .offset:         68
        .size:           2
        .value_kind:     hidden_remainder_y
      - .offset:         70
        .size:           2
        .value_kind:     hidden_remainder_z
      - .offset:         88
        .size:           8
        .value_kind:     hidden_global_offset_x
      - .offset:         96
        .size:           8
        .value_kind:     hidden_global_offset_y
      - .offset:         104
        .size:           8
        .value_kind:     hidden_global_offset_z
      - .offset:         112
        .size:           2
        .value_kind:     hidden_grid_dims
    .group_segment_fixed_size: 0
    .kernarg_segment_align: 8
    .kernarg_segment_size: 304
    .language:       OpenCL C
    .language_version:
      - 2
      - 0
    .max_flat_workgroup_size: 1024
    .name:           moe_weighted_acc_scaled
    .private_segment_fixed_size: 0
    .sgpr_count:     20
    .sgpr_spill_count: 0
    .symbol:         moe_weighted_acc_scaled.kd
    .uniform_work_group_size: 1
    .uses_dynamic_stack: false
    .vgpr_count:     9
    .vgpr_spill_count: 0
    .wavefront_size: 64
  - .agpr_count:     0
    .args:
      - .address_space:  global
        .offset:         0
        .size:           8
        .value_kind:     global_buffer
      - .address_space:  global
        .offset:         8
        .size:           8
        .value_kind:     global_buffer
      - .address_space:  global
        .offset:         16
        .size:           8
        .value_kind:     global_buffer
      - .address_space:  global
        .offset:         24
        .size:           8
        .value_kind:     global_buffer
      - .offset:         32
        .size:           16
        .value_kind:     by_value
      - .offset:         48
        .size:           4
        .value_kind:     hidden_block_count_x
      - .offset:         52
        .size:           4
        .value_kind:     hidden_block_count_y
      - .offset:         56
        .size:           4
        .value_kind:     hidden_block_count_z
      - .offset:         60
        .size:           2
        .value_kind:     hidden_group_size_x
      - .offset:         62
        .size:           2
        .value_kind:     hidden_group_size_y
      - .offset:         64
        .size:           2
        .value_kind:     hidden_group_size_z
      - .offset:         66
        .size:           2
        .value_kind:     hidden_remainder_x
      - .offset:         68
        .size:           2
        .value_kind:     hidden_remainder_y
      - .offset:         70
        .size:           2
        .value_kind:     hidden_remainder_z
      - .offset:         88
        .size:           8
        .value_kind:     hidden_global_offset_x
      - .offset:         96
        .size:           8
        .value_kind:     hidden_global_offset_y
      - .offset:         104
        .size:           8
        .value_kind:     hidden_global_offset_z
      - .offset:         112
        .size:           2
        .value_kind:     hidden_grid_dims
    .group_segment_fixed_size: 0
    .kernarg_segment_align: 8
    .kernarg_segment_size: 304
    .language:       OpenCL C
    .language_version:
      - 2
      - 0
    .max_flat_workgroup_size: 1024
    .name:           ssm_conv1d
    .private_segment_fixed_size: 0
    .sgpr_count:     27
    .sgpr_spill_count: 0
    .symbol:         ssm_conv1d.kd
    .uniform_work_group_size: 1
    .uses_dynamic_stack: false
    .vgpr_count:     14
    .vgpr_spill_count: 0
    .wavefront_size: 64
  - .agpr_count:     0
    .args:
      - .address_space:  global
        .offset:         0
        .size:           8
        .value_kind:     global_buffer
      - .address_space:  global
        .offset:         8
        .size:           8
        .value_kind:     global_buffer
      - .address_space:  global
        .offset:         16
        .size:           8
        .value_kind:     global_buffer
      - .address_space:  global
        .offset:         24
        .size:           8
        .value_kind:     global_buffer
      - .offset:         32
        .size:           20
        .value_kind:     by_value
      - .offset:         56
        .size:           4
        .value_kind:     hidden_block_count_x
      - .offset:         60
        .size:           4
        .value_kind:     hidden_block_count_y
      - .offset:         64
        .size:           4
        .value_kind:     hidden_block_count_z
      - .offset:         68
        .size:           2
        .value_kind:     hidden_group_size_x
      - .offset:         70
        .size:           2
        .value_kind:     hidden_group_size_y
      - .offset:         72
        .size:           2
        .value_kind:     hidden_group_size_z
      - .offset:         74
        .size:           2
        .value_kind:     hidden_remainder_x
      - .offset:         76
        .size:           2
        .value_kind:     hidden_remainder_y
      - .offset:         78
        .size:           2
        .value_kind:     hidden_remainder_z
      - .offset:         96
        .size:           8
        .value_kind:     hidden_global_offset_x
      - .offset:         104
        .size:           8
        .value_kind:     hidden_global_offset_y
      - .offset:         112
        .size:           8
        .value_kind:     hidden_global_offset_z
      - .offset:         120
        .size:           2
        .value_kind:     hidden_grid_dims
    .group_segment_fixed_size: 132
    .kernarg_segment_align: 8
    .kernarg_segment_size: 312
    .language:       OpenCL C
    .language_version:
      - 2
      - 0
    .max_flat_workgroup_size: 1024
    .name:           ssm_gated_norm
    .private_segment_fixed_size: 0
    .sgpr_count:     26
    .sgpr_spill_count: 0
    .symbol:         ssm_gated_norm.kd
    .uniform_work_group_size: 1
    .uses_dynamic_stack: false
    .vgpr_count:     19
    .vgpr_spill_count: 0
    .wavefront_size: 64
  - .agpr_count:     0
    .args:
      - .address_space:  global
        .offset:         0
        .size:           8
        .value_kind:     global_buffer
      - .address_space:  global
        .offset:         8
        .size:           8
        .value_kind:     global_buffer
      - .address_space:  global
        .offset:         16
        .size:           8
        .value_kind:     global_buffer
      - .address_space:  global
        .offset:         24
        .size:           8
        .value_kind:     global_buffer
      - .offset:         32
        .size:           8
        .value_kind:     by_value
      - .offset:         40
        .size:           4
        .value_kind:     hidden_block_count_x
      - .offset:         44
        .size:           4
        .value_kind:     hidden_block_count_y
      - .offset:         48
        .size:           4
        .value_kind:     hidden_block_count_z
      - .offset:         52
        .size:           2
        .value_kind:     hidden_group_size_x
      - .offset:         54
        .size:           2
        .value_kind:     hidden_group_size_y
      - .offset:         56
        .size:           2
        .value_kind:     hidden_group_size_z
      - .offset:         58
        .size:           2
        .value_kind:     hidden_remainder_x
      - .offset:         60
        .size:           2
        .value_kind:     hidden_remainder_y
      - .offset:         62
        .size:           2
        .value_kind:     hidden_remainder_z
      - .offset:         80
        .size:           8
        .value_kind:     hidden_global_offset_x
      - .offset:         88
        .size:           8
        .value_kind:     hidden_global_offset_y
      - .offset:         96
        .size:           8
        .value_kind:     hidden_global_offset_z
      - .offset:         104
        .size:           2
        .value_kind:     hidden_grid_dims
    .group_segment_fixed_size: 0
    .kernarg_segment_align: 8
    .kernarg_segment_size: 296
    .language:       OpenCL C
    .language_version:
      - 2
      - 0
    .max_flat_workgroup_size: 1024
    .name:           kv_cache_write
    .private_segment_fixed_size: 0
    .sgpr_count:     20
    .sgpr_spill_count: 0
    .symbol:         kv_cache_write.kd
    .uniform_work_group_size: 1
    .uses_dynamic_stack: false
    .vgpr_count:     8
    .vgpr_spill_count: 0
    .wavefront_size: 64
  - .agpr_count:     0
    .args:
      - .address_space:  global
        .offset:         0
        .size:           8
        .value_kind:     global_buffer
      - .address_space:  global
        .offset:         8
        .size:           8
        .value_kind:     global_buffer
      - .address_space:  global
        .offset:         16
        .size:           8
        .value_kind:     global_buffer
      - .address_space:  global
        .offset:         24
        .size:           8
        .value_kind:     global_buffer
      - .address_space:  global
        .offset:         32
        .size:           8
        .value_kind:     global_buffer
      - .offset:         40
        .size:           24
        .value_kind:     by_value
      - .offset:         64
        .size:           4
        .value_kind:     hidden_block_count_x
      - .offset:         68
        .size:           4
        .value_kind:     hidden_block_count_y
      - .offset:         72
        .size:           4
        .value_kind:     hidden_block_count_z
      - .offset:         76
        .size:           2
        .value_kind:     hidden_group_size_x
      - .offset:         78
        .size:           2
        .value_kind:     hidden_group_size_y
      - .offset:         80
        .size:           2
        .value_kind:     hidden_group_size_z
      - .offset:         82
        .size:           2
        .value_kind:     hidden_remainder_x
      - .offset:         84
        .size:           2
        .value_kind:     hidden_remainder_y
      - .offset:         86
        .size:           2
        .value_kind:     hidden_remainder_z
      - .offset:         104
        .size:           8
        .value_kind:     hidden_global_offset_x
      - .offset:         112
        .size:           8
        .value_kind:     hidden_global_offset_y
      - .offset:         120
        .size:           8
        .value_kind:     hidden_global_offset_z
      - .offset:         128
        .size:           2
        .value_kind:     hidden_grid_dims
      - .offset:         184
        .size:           4
        .value_kind:     hidden_dynamic_lds_size
    .group_segment_fixed_size: 268
    .kernarg_segment_align: 8
    .kernarg_segment_size: 320
    .language:       OpenCL C
    .language_version:
      - 2
      - 0
    .max_flat_workgroup_size: 1024
    .name:           naive_attention
    .private_segment_fixed_size: 0
    .sgpr_count:     42
    .sgpr_spill_count: 0
    .symbol:         naive_attention.kd
    .uniform_work_group_size: 1
    .uses_dynamic_stack: false
    .vgpr_count:     28
    .vgpr_spill_count: 0
    .wavefront_size: 64
  - .agpr_count:     0
    .args:
      - .address_space:  global
        .offset:         0
        .size:           8
        .value_kind:     global_buffer
      - .address_space:  global
        .offset:         8
        .size:           8
        .value_kind:     global_buffer
      - .address_space:  global
        .offset:         16
        .size:           8
        .value_kind:     global_buffer
      - .address_space:  global
        .offset:         24
        .size:           8
        .value_kind:     global_buffer
      - .address_space:  global
        .offset:         32
        .size:           8
        .value_kind:     global_buffer
      - .address_space:  global
        .offset:         40
        .size:           8
        .value_kind:     global_buffer
      - .address_space:  global
        .offset:         48
        .size:           8
        .value_kind:     global_buffer
      - .offset:         56
        .size:           52
        .value_kind:     by_value
      - .offset:         112
        .size:           4
        .value_kind:     hidden_block_count_x
      - .offset:         116
        .size:           4
        .value_kind:     hidden_block_count_y
      - .offset:         120
        .size:           4
        .value_kind:     hidden_block_count_z
      - .offset:         124
        .size:           2
        .value_kind:     hidden_group_size_x
      - .offset:         126
        .size:           2
        .value_kind:     hidden_group_size_y
      - .offset:         128
        .size:           2
        .value_kind:     hidden_group_size_z
      - .offset:         130
        .size:           2
        .value_kind:     hidden_remainder_x
      - .offset:         132
        .size:           2
        .value_kind:     hidden_remainder_y
      - .offset:         134
        .size:           2
        .value_kind:     hidden_remainder_z
      - .offset:         152
        .size:           8
        .value_kind:     hidden_global_offset_x
      - .offset:         160
        .size:           8
        .value_kind:     hidden_global_offset_y
      - .offset:         168
        .size:           8
        .value_kind:     hidden_global_offset_z
      - .offset:         176
        .size:           2
        .value_kind:     hidden_grid_dims
    .group_segment_fixed_size: 140
    .kernarg_segment_align: 8
    .kernarg_segment_size: 368
    .language:       OpenCL C
    .language_version:
      - 2
      - 0
    .max_flat_workgroup_size: 1024
    .name:           ssm_delta_net
    .private_segment_fixed_size: 0
    .sgpr_count:     56
    .sgpr_spill_count: 0
    .symbol:         ssm_delta_net.kd
    .uniform_work_group_size: 1
    .uses_dynamic_stack: false
    .vgpr_count:     30
    .vgpr_spill_count: 0
    .wavefront_size: 64
  - .agpr_count:     0
    .args:
      - .address_space:  global
        .offset:         0
        .size:           8
        .value_kind:     global_buffer
      - .address_space:  global
        .offset:         8
        .size:           8
        .value_kind:     global_buffer
      - .address_space:  global
        .offset:         16
        .size:           8
        .value_kind:     global_buffer
      - .offset:         24
        .size:           24
        .value_kind:     by_value
      - .offset:         48
        .size:           4
        .value_kind:     hidden_block_count_x
      - .offset:         52
        .size:           4
        .value_kind:     hidden_block_count_y
      - .offset:         56
        .size:           4
        .value_kind:     hidden_block_count_z
      - .offset:         60
        .size:           2
        .value_kind:     hidden_group_size_x
      - .offset:         62
        .size:           2
        .value_kind:     hidden_group_size_y
      - .offset:         64
        .size:           2
        .value_kind:     hidden_group_size_z
      - .offset:         66
        .size:           2
        .value_kind:     hidden_remainder_x
      - .offset:         68
        .size:           2
        .value_kind:     hidden_remainder_y
      - .offset:         70
        .size:           2
        .value_kind:     hidden_remainder_z
      - .offset:         88
        .size:           8
        .value_kind:     hidden_global_offset_x
      - .offset:         96
        .size:           8
        .value_kind:     hidden_global_offset_y
      - .offset:         104
        .size:           8
        .value_kind:     hidden_global_offset_z
      - .offset:         112
        .size:           2
        .value_kind:     hidden_grid_dims
    .group_segment_fixed_size: 128
    .kernarg_segment_align: 8
    .kernarg_segment_size: 304
    .language:       OpenCL C
    .language_version:
      - 2
      - 0
    .max_flat_workgroup_size: 1024
    .name:           dmmv_q4k_fast
    .private_segment_fixed_size: 0
    .sgpr_count:     30
    .sgpr_spill_count: 0
    .symbol:         dmmv_q4k_fast.kd
    .uniform_work_group_size: 1
    .uses_dynamic_stack: false
    .vgpr_count:     53
    .vgpr_spill_count: 0
    .wavefront_size: 64
  - .agpr_count:     0
    .args:
      - .address_space:  global
        .offset:         0
        .size:           8
        .value_kind:     global_buffer
      - .address_space:  global
        .offset:         8
        .size:           8
        .value_kind:     global_buffer
      - .address_space:  global
        .offset:         16
        .size:           8
        .value_kind:     global_buffer
      - .offset:         24
        .size:           24
        .value_kind:     by_value
      - .offset:         48
        .size:           4
        .value_kind:     hidden_block_count_x
      - .offset:         52
        .size:           4
        .value_kind:     hidden_block_count_y
      - .offset:         56
        .size:           4
        .value_kind:     hidden_block_count_z
      - .offset:         60
        .size:           2
        .value_kind:     hidden_group_size_x
      - .offset:         62
        .size:           2
        .value_kind:     hidden_group_size_y
      - .offset:         64
        .size:           2
        .value_kind:     hidden_group_size_z
      - .offset:         66
        .size:           2
        .value_kind:     hidden_remainder_x
      - .offset:         68
        .size:           2
        .value_kind:     hidden_remainder_y
      - .offset:         70
        .size:           2
        .value_kind:     hidden_remainder_z
      - .offset:         88
        .size:           8
        .value_kind:     hidden_global_offset_x
      - .offset:         96
        .size:           8
        .value_kind:     hidden_global_offset_y
      - .offset:         104
        .size:           8
        .value_kind:     hidden_global_offset_z
      - .offset:         112
        .size:           2
        .value_kind:     hidden_grid_dims
    .group_segment_fixed_size: 128
    .kernarg_segment_align: 8
    .kernarg_segment_size: 304
    .language:       OpenCL C
    .language_version:
      - 2
      - 0
    .max_flat_workgroup_size: 1024
    .name:           dmmv_q6k_fast
    .private_segment_fixed_size: 0
    .sgpr_count:     28
    .sgpr_spill_count: 0
    .symbol:         dmmv_q6k_fast.kd
    .uniform_work_group_size: 1
    .uses_dynamic_stack: false
    .vgpr_count:     57
    .vgpr_spill_count: 0
    .wavefront_size: 64
  - .agpr_count:     0
    .args:
      - .address_space:  global
        .offset:         0
        .size:           8
        .value_kind:     global_buffer
      - .address_space:  global
        .offset:         8
        .size:           8
        .value_kind:     global_buffer
      - .address_space:  global
        .offset:         16
        .size:           8
        .value_kind:     global_buffer
      - .offset:         24
        .size:           24
        .value_kind:     by_value
      - .offset:         48
        .size:           4
        .value_kind:     hidden_block_count_x
      - .offset:         52
        .size:           4
        .value_kind:     hidden_block_count_y
      - .offset:         56
        .size:           4
        .value_kind:     hidden_block_count_z
      - .offset:         60
        .size:           2
        .value_kind:     hidden_group_size_x
      - .offset:         62
        .size:           2
        .value_kind:     hidden_group_size_y
      - .offset:         64
        .size:           2
        .value_kind:     hidden_group_size_z
      - .offset:         66
        .size:           2
        .value_kind:     hidden_remainder_x
      - .offset:         68
        .size:           2
        .value_kind:     hidden_remainder_y
      - .offset:         70
        .size:           2
        .value_kind:     hidden_remainder_z
      - .offset:         88
        .size:           8
        .value_kind:     hidden_global_offset_x
      - .offset:         96
        .size:           8
        .value_kind:     hidden_global_offset_y
      - .offset:         104
        .size:           8
        .value_kind:     hidden_global_offset_z
      - .offset:         112
        .size:           2
        .value_kind:     hidden_grid_dims
    .group_segment_fixed_size: 128
    .kernarg_segment_align: 8
    .kernarg_segment_size: 304
    .language:       OpenCL C
    .language_version:
      - 2
      - 0
    .max_flat_workgroup_size: 1024
    .name:           dmmv_q5k_fast
    .private_segment_fixed_size: 0
    .sgpr_count:     32
    .sgpr_spill_count: 0
    .symbol:         dmmv_q5k_fast.kd
    .uniform_work_group_size: 1
    .uses_dynamic_stack: false
    .vgpr_count:     56
    .vgpr_spill_count: 0
    .wavefront_size: 64
  - .agpr_count:     0
    .args:
      - .address_space:  global
        .offset:         0
        .size:           8
        .value_kind:     global_buffer
      - .address_space:  global
        .offset:         8
        .size:           8
        .value_kind:     global_buffer
      - .address_space:  global
        .offset:         16
        .size:           8
        .value_kind:     global_buffer
      - .address_space:  global
        .offset:         24
        .size:           8
        .value_kind:     global_buffer
      - .offset:         32
        .size:           24
        .value_kind:     by_value
      - .offset:         56
        .size:           4
        .value_kind:     hidden_block_count_x
      - .offset:         60
        .size:           4
        .value_kind:     hidden_block_count_y
      - .offset:         64
        .size:           4
        .value_kind:     hidden_block_count_z
      - .offset:         68
        .size:           2
        .value_kind:     hidden_group_size_x
      - .offset:         70
        .size:           2
        .value_kind:     hidden_group_size_y
      - .offset:         72
        .size:           2
        .value_kind:     hidden_group_size_z
      - .offset:         74
        .size:           2
        .value_kind:     hidden_remainder_x
      - .offset:         76
        .size:           2
        .value_kind:     hidden_remainder_y
      - .offset:         78
        .size:           2
        .value_kind:     hidden_remainder_z
      - .offset:         96
        .size:           8
        .value_kind:     hidden_global_offset_x
      - .offset:         104
        .size:           8
        .value_kind:     hidden_global_offset_y
      - .offset:         112
        .size:           8
        .value_kind:     hidden_global_offset_z
      - .offset:         120
        .size:           2
        .value_kind:     hidden_grid_dims
    .group_segment_fixed_size: 128
    .kernarg_segment_align: 8
    .kernarg_segment_size: 312
    .language:       OpenCL C
    .language_version:
      - 2
      - 0
    .max_flat_workgroup_size: 1024
    .name:           dmmv_q4k_experts
    .private_segment_fixed_size: 0
    .sgpr_count:     30
    .sgpr_spill_count: 0
    .symbol:         dmmv_q4k_experts.kd
    .uniform_work_group_size: 1
    .uses_dynamic_stack: false
    .vgpr_count:     53
    .vgpr_spill_count: 0
    .wavefront_size: 64
  - .agpr_count:     0
    .args:
      - .address_space:  global
        .offset:         0
        .size:           8
        .value_kind:     global_buffer
      - .address_space:  global
        .offset:         8
        .size:           8
        .value_kind:     global_buffer
      - .address_space:  global
        .offset:         16
        .size:           8
        .value_kind:     global_buffer
      - .address_space:  global
        .offset:         24
        .size:           8
        .value_kind:     global_buffer
      - .offset:         32
        .size:           24
        .value_kind:     by_value
      - .offset:         56
        .size:           4
        .value_kind:     hidden_block_count_x
      - .offset:         60
        .size:           4
        .value_kind:     hidden_block_count_y
      - .offset:         64
        .size:           4
        .value_kind:     hidden_block_count_z
      - .offset:         68
        .size:           2
        .value_kind:     hidden_group_size_x
      - .offset:         70
        .size:           2
        .value_kind:     hidden_group_size_y
      - .offset:         72
        .size:           2
        .value_kind:     hidden_group_size_z
      - .offset:         74
        .size:           2
        .value_kind:     hidden_remainder_x
      - .offset:         76
        .size:           2
        .value_kind:     hidden_remainder_y
      - .offset:         78
        .size:           2
        .value_kind:     hidden_remainder_z
      - .offset:         96
        .size:           8
        .value_kind:     hidden_global_offset_x
      - .offset:         104
        .size:           8
        .value_kind:     hidden_global_offset_y
      - .offset:         112
        .size:           8
        .value_kind:     hidden_global_offset_z
      - .offset:         120
        .size:           2
        .value_kind:     hidden_grid_dims
    .group_segment_fixed_size: 128
    .kernarg_segment_align: 8
    .kernarg_segment_size: 312
    .language:       OpenCL C
    .language_version:
      - 2
      - 0
    .max_flat_workgroup_size: 1024
    .name:           dmmv_q5k_experts
    .private_segment_fixed_size: 0
    .sgpr_count:     32
    .sgpr_spill_count: 0
    .symbol:         dmmv_q5k_experts.kd
    .uniform_work_group_size: 1
    .uses_dynamic_stack: false
    .vgpr_count:     56
    .vgpr_spill_count: 0
    .wavefront_size: 64
  - .agpr_count:     0
    .args:
      - .address_space:  global
        .offset:         0
        .size:           8
        .value_kind:     global_buffer
      - .address_space:  global
        .offset:         8
        .size:           8
        .value_kind:     global_buffer
      - .address_space:  global
        .offset:         16
        .size:           8
        .value_kind:     global_buffer
      - .address_space:  global
        .offset:         24
        .size:           8
        .value_kind:     global_buffer
      - .offset:         32
        .size:           24
        .value_kind:     by_value
      - .offset:         56
        .size:           4
        .value_kind:     hidden_block_count_x
      - .offset:         60
        .size:           4
        .value_kind:     hidden_block_count_y
      - .offset:         64
        .size:           4
        .value_kind:     hidden_block_count_z
      - .offset:         68
        .size:           2
        .value_kind:     hidden_group_size_x
      - .offset:         70
        .size:           2
        .value_kind:     hidden_group_size_y
      - .offset:         72
        .size:           2
        .value_kind:     hidden_group_size_z
      - .offset:         74
        .size:           2
        .value_kind:     hidden_remainder_x
      - .offset:         76
        .size:           2
        .value_kind:     hidden_remainder_y
      - .offset:         78
        .size:           2
        .value_kind:     hidden_remainder_z
      - .offset:         96
        .size:           8
        .value_kind:     hidden_global_offset_x
      - .offset:         104
        .size:           8
        .value_kind:     hidden_global_offset_y
      - .offset:         112
        .size:           8
        .value_kind:     hidden_global_offset_z
      - .offset:         120
        .size:           2
        .value_kind:     hidden_grid_dims
    .group_segment_fixed_size: 128
    .kernarg_segment_align: 8
    .kernarg_segment_size: 312
    .language:       OpenCL C
    .language_version:
      - 2
      - 0
    .max_flat_workgroup_size: 1024
    .name:           dmmv_q5_1_experts
    .private_segment_fixed_size: 0
    .sgpr_count:     30
    .sgpr_spill_count: 0
    .symbol:         dmmv_q5_1_experts.kd
    .uniform_work_group_size: 1
    .uses_dynamic_stack: false
    .vgpr_count:     14
    .vgpr_spill_count: 0
    .wavefront_size: 64
  - .agpr_count:     0
    .args:
      - .address_space:  global
        .offset:         0
        .size:           8
        .value_kind:     global_buffer
      - .address_space:  global
        .offset:         8
        .size:           8
        .value_kind:     global_buffer
      - .address_space:  global
        .offset:         16
        .size:           8
        .value_kind:     global_buffer
      - .offset:         24
        .size:           24
        .value_kind:     by_value
      - .offset:         48
        .size:           4
        .value_kind:     hidden_block_count_x
      - .offset:         52
        .size:           4
        .value_kind:     hidden_block_count_y
      - .offset:         56
        .size:           4
        .value_kind:     hidden_block_count_z
      - .offset:         60
        .size:           2
        .value_kind:     hidden_group_size_x
      - .offset:         62
        .size:           2
        .value_kind:     hidden_group_size_y
      - .offset:         64
        .size:           2
        .value_kind:     hidden_group_size_z
      - .offset:         66
        .size:           2
        .value_kind:     hidden_remainder_x
      - .offset:         68
        .size:           2
        .value_kind:     hidden_remainder_y
      - .offset:         70
        .size:           2
        .value_kind:     hidden_remainder_z
      - .offset:         88
        .size:           8
        .value_kind:     hidden_global_offset_x
      - .offset:         96
        .size:           8
        .value_kind:     hidden_global_offset_y
      - .offset:         104
        .size:           8
        .value_kind:     hidden_global_offset_z
      - .offset:         112
        .size:           2
        .value_kind:     hidden_grid_dims
    .group_segment_fixed_size: 128
    .kernarg_segment_align: 8
    .kernarg_segment_size: 304
    .language:       OpenCL C
    .language_version:
      - 2
      - 0
    .max_flat_workgroup_size: 1024
    .name:           dmmv_q8_0_fast
    .private_segment_fixed_size: 0
    .sgpr_count:     28
    .sgpr_spill_count: 0
    .symbol:         dmmv_q8_0_fast.kd
    .uniform_work_group_size: 1
    .uses_dynamic_stack: false
    .vgpr_count:     60
    .vgpr_spill_count: 0
    .wavefront_size: 64
  - .agpr_count:     0
    .args:
      - .address_space:  global
        .offset:         0
        .size:           8
        .value_kind:     global_buffer
      - .address_space:  global
        .offset:         8
        .size:           8
        .value_kind:     global_buffer
      - .address_space:  global
        .offset:         16
        .size:           8
        .value_kind:     global_buffer
      - .offset:         24
        .size:           24
        .value_kind:     by_value
      - .offset:         48
        .size:           4
        .value_kind:     hidden_block_count_x
      - .offset:         52
        .size:           4
        .value_kind:     hidden_block_count_y
      - .offset:         56
        .size:           4
        .value_kind:     hidden_block_count_z
      - .offset:         60
        .size:           2
        .value_kind:     hidden_group_size_x
      - .offset:         62
        .size:           2
        .value_kind:     hidden_group_size_y
      - .offset:         64
        .size:           2
        .value_kind:     hidden_group_size_z
      - .offset:         66
        .size:           2
        .value_kind:     hidden_remainder_x
      - .offset:         68
        .size:           2
        .value_kind:     hidden_remainder_y
      - .offset:         70
        .size:           2
        .value_kind:     hidden_remainder_z
      - .offset:         88
        .size:           8
        .value_kind:     hidden_global_offset_x
      - .offset:         96
        .size:           8
        .value_kind:     hidden_global_offset_y
      - .offset:         104
        .size:           8
        .value_kind:     hidden_global_offset_z
      - .offset:         112
        .size:           2
        .value_kind:     hidden_grid_dims
    .group_segment_fixed_size: 128
    .kernarg_segment_align: 8
    .kernarg_segment_size: 304
    .language:       OpenCL C
    .language_version:
      - 2
      - 0
    .max_flat_workgroup_size: 1024
    .name:           dmmv_q4k_mr2
    .private_segment_fixed_size: 0
    .sgpr_count:     35
    .sgpr_spill_count: 0
    .symbol:         dmmv_q4k_mr2.kd
    .uniform_work_group_size: 1
    .uses_dynamic_stack: false
    .vgpr_count:     62
    .vgpr_spill_count: 0
    .wavefront_size: 64
  - .agpr_count:     0
    .args:
      - .address_space:  global
        .offset:         0
        .size:           8
        .value_kind:     global_buffer
      - .address_space:  global
        .offset:         8
        .size:           8
        .value_kind:     global_buffer
      - .address_space:  global
        .offset:         16
        .size:           8
        .value_kind:     global_buffer
      - .offset:         24
        .size:           24
        .value_kind:     by_value
      - .offset:         48
        .size:           4
        .value_kind:     hidden_block_count_x
      - .offset:         52
        .size:           4
        .value_kind:     hidden_block_count_y
      - .offset:         56
        .size:           4
        .value_kind:     hidden_block_count_z
      - .offset:         60
        .size:           2
        .value_kind:     hidden_group_size_x
      - .offset:         62
        .size:           2
        .value_kind:     hidden_group_size_y
      - .offset:         64
        .size:           2
        .value_kind:     hidden_group_size_z
      - .offset:         66
        .size:           2
        .value_kind:     hidden_remainder_x
      - .offset:         68
        .size:           2
        .value_kind:     hidden_remainder_y
      - .offset:         70
        .size:           2
        .value_kind:     hidden_remainder_z
      - .offset:         88
        .size:           8
        .value_kind:     hidden_global_offset_x
      - .offset:         96
        .size:           8
        .value_kind:     hidden_global_offset_y
      - .offset:         104
        .size:           8
        .value_kind:     hidden_global_offset_z
      - .offset:         112
        .size:           2
        .value_kind:     hidden_grid_dims
    .group_segment_fixed_size: 128
    .kernarg_segment_align: 8
    .kernarg_segment_size: 304
    .language:       OpenCL C
    .language_version:
      - 2
      - 0
    .max_flat_workgroup_size: 1024
    .name:           dmmv_q4k_mr4
    .private_segment_fixed_size: 0
    .sgpr_count:     42
    .sgpr_spill_count: 0
    .symbol:         dmmv_q4k_mr4.kd
    .uniform_work_group_size: 1
    .uses_dynamic_stack: false
    .vgpr_count:     60
    .vgpr_spill_count: 0
    .wavefront_size: 64
  - .agpr_count:     0
    .args:
      - .address_space:  global
        .offset:         0
        .size:           8
        .value_kind:     global_buffer
      - .address_space:  global
        .offset:         8
        .size:           8
        .value_kind:     global_buffer
      - .address_space:  global
        .offset:         16
        .size:           8
        .value_kind:     global_buffer
      - .offset:         24
        .size:           24
        .value_kind:     by_value
      - .offset:         48
        .size:           4
        .value_kind:     hidden_block_count_x
      - .offset:         52
        .size:           4
        .value_kind:     hidden_block_count_y
      - .offset:         56
        .size:           4
        .value_kind:     hidden_block_count_z
      - .offset:         60
        .size:           2
        .value_kind:     hidden_group_size_x
      - .offset:         62
        .size:           2
        .value_kind:     hidden_group_size_y
      - .offset:         64
        .size:           2
        .value_kind:     hidden_group_size_z
      - .offset:         66
        .size:           2
        .value_kind:     hidden_remainder_x
      - .offset:         68
        .size:           2
        .value_kind:     hidden_remainder_y
      - .offset:         70
        .size:           2
        .value_kind:     hidden_remainder_z
      - .offset:         88
        .size:           8
        .value_kind:     hidden_global_offset_x
      - .offset:         96
        .size:           8
        .value_kind:     hidden_global_offset_y
      - .offset:         104
        .size:           8
        .value_kind:     hidden_global_offset_z
      - .offset:         112
        .size:           2
        .value_kind:     hidden_grid_dims
    .group_segment_fixed_size: 128
    .kernarg_segment_align: 8
    .kernarg_segment_size: 304
    .language:       OpenCL C
    .language_version:
      - 2
      - 0
    .max_flat_workgroup_size: 1024
    .name:           dmmv_q5k_mr2
    .private_segment_fixed_size: 0
    .sgpr_count:     35
    .sgpr_spill_count: 0
    .symbol:         dmmv_q5k_mr2.kd
    .uniform_work_group_size: 1
    .uses_dynamic_stack: false
    .vgpr_count:     79
    .vgpr_spill_count: 0
    .wavefront_size: 64
  - .agpr_count:     0
    .args:
      - .address_space:  global
        .offset:         0
        .size:           8
        .value_kind:     global_buffer
      - .address_space:  global
        .offset:         8
        .size:           8
        .value_kind:     global_buffer
      - .address_space:  global
        .offset:         16
        .size:           8
        .value_kind:     global_buffer
      - .offset:         24
        .size:           28
        .value_kind:     by_value
    .group_segment_fixed_size: 40960
    .kernarg_segment_align: 8
    .kernarg_segment_size: 52
    .language:       OpenCL C
    .language_version:
      - 2
      - 0
    .max_flat_workgroup_size: 1024
    .name:           gemm_q4k_tiled
    .private_segment_fixed_size: 0
    .sgpr_count:     98
    .sgpr_spill_count: 0
    .symbol:         gemm_q4k_tiled.kd
    .uniform_work_group_size: 1
    .uses_dynamic_stack: false
    .vgpr_count:     108
    .vgpr_spill_count: 0
    .wavefront_size: 64
  - .agpr_count:     0
    .args:
      - .address_space:  global
        .offset:         0
        .size:           8
        .value_kind:     global_buffer
      - .address_space:  global
        .offset:         8
        .size:           8
        .value_kind:     global_buffer
      - .address_space:  global
        .offset:         16
        .size:           8
        .value_kind:     global_buffer
      - .offset:         24
        .size:           28
        .value_kind:     by_value
    .group_segment_fixed_size: 16384
    .kernarg_segment_align: 8
    .kernarg_segment_size: 52
    .language:       OpenCL C
    .language_version:
      - 2
      - 0
    .max_flat_workgroup_size: 1024
    .name:           gemm_q4k_tiled_v2
    .private_segment_fixed_size: 0
    .sgpr_count:     69
    .sgpr_spill_count: 0
    .symbol:         gemm_q4k_tiled_v2.kd
    .uniform_work_group_size: 1
    .uses_dynamic_stack: false
    .vgpr_count:     90
    .vgpr_spill_count: 0
    .wavefront_size: 64
  - .agpr_count:     0
    .args:
      - .address_space:  global
        .offset:         0
        .size:           8
        .value_kind:     global_buffer
      - .address_space:  global
        .offset:         8
        .size:           8
        .value_kind:     global_buffer
      - .address_space:  global
        .offset:         16
        .size:           8
        .value_kind:     global_buffer
      - .offset:         24
        .size:           28
        .value_kind:     by_value
    .group_segment_fixed_size: 16384
    .kernarg_segment_align: 8
    .kernarg_segment_size: 52
    .language:       OpenCL C
    .language_version:
      - 2
      - 0
    .max_flat_workgroup_size: 1024
    .name:           gemm_q6k_tiled_v2
    .private_segment_fixed_size: 0
    .sgpr_count:     66
    .sgpr_spill_count: 0
    .symbol:         gemm_q6k_tiled_v2.kd
    .uniform_work_group_size: 1
    .uses_dynamic_stack: false
    .vgpr_count:     118
    .vgpr_spill_count: 0
    .wavefront_size: 64
  - .agpr_count:     0
    .args:
      - .address_space:  global
        .offset:         0
        .size:           8
        .value_kind:     global_buffer
      - .address_space:  global
        .offset:         8
        .size:           8
        .value_kind:     global_buffer
      - .address_space:  global
        .offset:         16
        .size:           8
        .value_kind:     global_buffer
      - .offset:         24
        .size:           28
        .value_kind:     by_value
    .group_segment_fixed_size: 16384
    .kernarg_segment_align: 8
    .kernarg_segment_size: 52
    .language:       OpenCL C
    .language_version:
      - 2
      - 0
    .max_flat_workgroup_size: 1024
    .name:           gemm_q5k_tiled_v2
    .private_segment_fixed_size: 0
    .sgpr_count:     70
    .sgpr_spill_count: 0
    .symbol:         gemm_q5k_tiled_v2.kd
    .uniform_work_group_size: 1
    .uses_dynamic_stack: false
    .vgpr_count:     114
    .vgpr_spill_count: 0
    .wavefront_size: 64
  - .agpr_count:     0
    .args:
      - .address_space:  global
        .offset:         0
        .size:           8
        .value_kind:     global_buffer
      - .address_space:  global
        .offset:         8
        .size:           8
        .value_kind:     global_buffer
      - .address_space:  global
        .offset:         16
        .size:           8
        .value_kind:     global_buffer
      - .offset:         24
        .size:           4
        .value_kind:     by_value
      - .offset:         32
        .size:           4
        .value_kind:     hidden_block_count_x
      - .offset:         36
        .size:           4
        .value_kind:     hidden_block_count_y
      - .offset:         40
        .size:           4
        .value_kind:     hidden_block_count_z
      - .offset:         44
        .size:           2
        .value_kind:     hidden_group_size_x
      - .offset:         46
        .size:           2
        .value_kind:     hidden_group_size_y
      - .offset:         48
        .size:           2
        .value_kind:     hidden_group_size_z
      - .offset:         50
        .size:           2
        .value_kind:     hidden_remainder_x
      - .offset:         52
        .size:           2
        .value_kind:     hidden_remainder_y
      - .offset:         54
        .size:           2
        .value_kind:     hidden_remainder_z
      - .offset:         72
        .size:           8
        .value_kind:     hidden_global_offset_x
      - .offset:         80
        .size:           8
        .value_kind:     hidden_global_offset_y
      - .offset:         88
        .size:           8
        .value_kind:     hidden_global_offset_z
      - .offset:         96
        .size:           2
        .value_kind:     hidden_grid_dims
    .group_segment_fixed_size: 0
    .kernarg_segment_align: 8
    .kernarg_segment_size: 288
    .language:       OpenCL C
    .language_version:
      - 2
      - 0
    .max_flat_workgroup_size: 1024
    .name:           sigmoid_mul
    .private_segment_fixed_size: 0
    .sgpr_count:     12
    .sgpr_spill_count: 0
    .symbol:         sigmoid_mul.kd
    .uniform_work_group_size: 1
    .uses_dynamic_stack: false
    .vgpr_count:     10
    .vgpr_spill_count: 0
    .wavefront_size: 64
  - .agpr_count:     0
    .args:
      - .address_space:  global
        .offset:         0
        .size:           8
        .value_kind:     global_buffer
      - .address_space:  global
        .offset:         8
        .size:           8
        .value_kind:     global_buffer
      - .offset:         16
        .size:           8
        .value_kind:     by_value
      - .offset:         24
        .size:           4
        .value_kind:     hidden_block_count_x
      - .offset:         28
        .size:           4
        .value_kind:     hidden_block_count_y
      - .offset:         32
        .size:           4
        .value_kind:     hidden_block_count_z
      - .offset:         36
        .size:           2
        .value_kind:     hidden_group_size_x
      - .offset:         38
        .size:           2
        .value_kind:     hidden_group_size_y
      - .offset:         40
        .size:           2
        .value_kind:     hidden_group_size_z
      - .offset:         42
        .size:           2
        .value_kind:     hidden_remainder_x
      - .offset:         44
        .size:           2
        .value_kind:     hidden_remainder_y
      - .offset:         46
        .size:           2
        .value_kind:     hidden_remainder_z
      - .offset:         64
        .size:           8
        .value_kind:     hidden_global_offset_x
      - .offset:         72
        .size:           8
        .value_kind:     hidden_global_offset_y
      - .offset:         80
        .size:           8
        .value_kind:     hidden_global_offset_z
      - .offset:         88
        .size:           2
        .value_kind:     hidden_grid_dims
    .group_segment_fixed_size: 132
    .kernarg_segment_align: 8
    .kernarg_segment_size: 280
    .language:       OpenCL C
    .language_version:
      - 2
      - 0
    .max_flat_workgroup_size: 1024
    .name:           rms_norm_noweight
    .private_segment_fixed_size: 0
    .sgpr_count:     21
    .sgpr_spill_count: 0
    .symbol:         rms_norm_noweight.kd
    .uniform_work_group_size: 1
    .uses_dynamic_stack: false
    .vgpr_count:     10
    .vgpr_spill_count: 0
    .wavefront_size: 64
  - .agpr_count:     0
    .args:
      - .address_space:  global
        .offset:         0
        .size:           8
        .value_kind:     global_buffer
      - .address_space:  global
        .offset:         8
        .size:           8
        .value_kind:     global_buffer
      - .offset:         16
        .size:           12
        .value_kind:     by_value
      - .offset:         32
        .size:           4
        .value_kind:     hidden_block_count_x
      - .offset:         36
        .size:           4
        .value_kind:     hidden_block_count_y
      - .offset:         40
        .size:           4
        .value_kind:     hidden_block_count_z
      - .offset:         44
        .size:           2
        .value_kind:     hidden_group_size_x
      - .offset:         46
        .size:           2
        .value_kind:     hidden_group_size_y
      - .offset:         48
        .size:           2
        .value_kind:     hidden_group_size_z
      - .offset:         50
        .size:           2
        .value_kind:     hidden_remainder_x
      - .offset:         52
        .size:           2
        .value_kind:     hidden_remainder_y
      - .offset:         54
        .size:           2
        .value_kind:     hidden_remainder_z
      - .offset:         72
        .size:           8
        .value_kind:     hidden_global_offset_x
      - .offset:         80
        .size:           8
        .value_kind:     hidden_global_offset_y
      - .offset:         88
        .size:           8
        .value_kind:     hidden_global_offset_z
      - .offset:         96
        .size:           2
        .value_kind:     hidden_grid_dims
    .group_segment_fixed_size: 132
    .kernarg_segment_align: 8
    .kernarg_segment_size: 288
    .language:       OpenCL C
    .language_version:
      - 2
      - 0
    .max_flat_workgroup_size: 1024
    .name:           rms_norm_kvwrite
    .private_segment_fixed_size: 0
    .sgpr_count:     22
    .sgpr_spill_count: 0
    .symbol:         rms_norm_kvwrite.kd
    .uniform_work_group_size: 1
    .uses_dynamic_stack: false
    .vgpr_count:     10
    .vgpr_spill_count: 0
    .wavefront_size: 64
  - .agpr_count:     0
    .args:
      - .address_space:  global
        .offset:         0
        .size:           8
        .value_kind:     global_buffer
      - .address_space:  global
        .offset:         8
        .size:           8
        .value_kind:     global_buffer
      - .address_space:  global
        .offset:         16
        .size:           8
        .value_kind:     global_buffer
      - .offset:         24
        .size:           4
        .value_kind:     by_value
      - .offset:         32
        .size:           4
        .value_kind:     hidden_block_count_x
      - .offset:         36
        .size:           4
        .value_kind:     hidden_block_count_y
      - .offset:         40
        .size:           4
        .value_kind:     hidden_block_count_z
      - .offset:         44
        .size:           2
        .value_kind:     hidden_group_size_x
      - .offset:         46
        .size:           2
        .value_kind:     hidden_group_size_y
      - .offset:         48
        .size:           2
        .value_kind:     hidden_group_size_z
      - .offset:         50
        .size:           2
        .value_kind:     hidden_remainder_x
      - .offset:         52
        .size:           2
        .value_kind:     hidden_remainder_y
      - .offset:         54
        .size:           2
        .value_kind:     hidden_remainder_z
      - .offset:         72
        .size:           8
        .value_kind:     hidden_global_offset_x
      - .offset:         80
        .size:           8
        .value_kind:     hidden_global_offset_y
      - .offset:         88
        .size:           8
        .value_kind:     hidden_global_offset_z
      - .offset:         96
        .size:           2
        .value_kind:     hidden_grid_dims
    .group_segment_fixed_size: 0
    .kernarg_segment_align: 8
    .kernarg_segment_size: 288
    .language:       OpenCL C
    .language_version:
      - 2
      - 0
    .max_flat_workgroup_size: 1024
    .name:           geglu
    .private_segment_fixed_size: 0
    .sgpr_count:     12
    .sgpr_spill_count: 0
    .symbol:         geglu.kd
    .uniform_work_group_size: 1
    .uses_dynamic_stack: false
    .vgpr_count:     8
    .vgpr_spill_count: 0
    .wavefront_size: 64
  - .agpr_count:     0
    .args:
      - .address_space:  global
        .offset:         0
        .size:           8
        .value_kind:     global_buffer
      - .address_space:  global
        .offset:         8
        .size:           8
        .value_kind:     global_buffer
      - .offset:         16
        .size:           4
        .value_kind:     by_value
      - .offset:         24
        .size:           4
        .value_kind:     hidden_block_count_x
      - .offset:         28
        .size:           4
        .value_kind:     hidden_block_count_y
      - .offset:         32
        .size:           4
        .value_kind:     hidden_block_count_z
      - .offset:         36
        .size:           2
        .value_kind:     hidden_group_size_x
      - .offset:         38
        .size:           2
        .value_kind:     hidden_group_size_y
      - .offset:         40
        .size:           2
        .value_kind:     hidden_group_size_z
      - .offset:         42
        .size:           2
        .value_kind:     hidden_remainder_x
      - .offset:         44
        .size:           2
        .value_kind:     hidden_remainder_y
      - .offset:         46
        .size:           2
        .value_kind:     hidden_remainder_z
      - .offset:         64
        .size:           8
        .value_kind:     hidden_global_offset_x
      - .offset:         72
        .size:           8
        .value_kind:     hidden_global_offset_y
      - .offset:         80
        .size:           8
        .value_kind:     hidden_global_offset_z
      - .offset:         88
        .size:           2
        .value_kind:     hidden_grid_dims
    .group_segment_fixed_size: 0
    .kernarg_segment_align: 8
    .kernarg_segment_size: 280
    .language:       OpenCL C
    .language_version:
      - 2
      - 0
    .max_flat_workgroup_size: 1024
    .name:           scalar_mul
    .private_segment_fixed_size: 0
    .sgpr_count:     11
    .sgpr_spill_count: 0
    .symbol:         scalar_mul.kd
    .uniform_work_group_size: 1
    .uses_dynamic_stack: false
    .vgpr_count:     3
    .vgpr_spill_count: 0
    .wavefront_size: 64
  - .agpr_count:     0
    .args:
      - .address_space:  global
        .offset:         0
        .size:           8
        .value_kind:     global_buffer
      - .address_space:  global
        .offset:         8
        .size:           8
        .value_kind:     global_buffer
      - .offset:         16
        .size:           8
        .value_kind:     by_value
      - .offset:         24
        .size:           4
        .value_kind:     hidden_block_count_x
      - .offset:         28
        .size:           4
        .value_kind:     hidden_block_count_y
      - .offset:         32
        .size:           4
        .value_kind:     hidden_block_count_z
      - .offset:         36
        .size:           2
        .value_kind:     hidden_group_size_x
      - .offset:         38
        .size:           2
        .value_kind:     hidden_group_size_y
      - .offset:         40
        .size:           2
        .value_kind:     hidden_group_size_z
      - .offset:         42
        .size:           2
        .value_kind:     hidden_remainder_x
      - .offset:         44
        .size:           2
        .value_kind:     hidden_remainder_y
      - .offset:         46
        .size:           2
        .value_kind:     hidden_remainder_z
      - .offset:         64
        .size:           8
        .value_kind:     hidden_global_offset_x
      - .offset:         72
        .size:           8
        .value_kind:     hidden_global_offset_y
      - .offset:         80
        .size:           8
        .value_kind:     hidden_global_offset_z
      - .offset:         88
        .size:           2
        .value_kind:     hidden_grid_dims
    .group_segment_fixed_size: 0
    .kernarg_segment_align: 8
    .kernarg_segment_size: 280
    .language:       OpenCL C
    .language_version:
      - 2
      - 0
    .max_flat_workgroup_size: 1024
    .name:           mul_vec_scaled
    .private_segment_fixed_size: 0
    .sgpr_count:     11
    .sgpr_spill_count: 0
    .symbol:         mul_vec_scaled.kd
    .uniform_work_group_size: 1
    .uses_dynamic_stack: false
    .vgpr_count:     6
    .vgpr_spill_count: 0
    .wavefront_size: 64
  - .agpr_count:     0
    .args:
      - .address_space:  global
        .offset:         0
        .size:           8
        .value_kind:     global_buffer
      - .offset:         8
        .size:           4
        .value_kind:     by_value
      - .offset:         16
        .size:           4
        .value_kind:     hidden_block_count_x
      - .offset:         20
        .size:           4
        .value_kind:     hidden_block_count_y
      - .offset:         24
        .size:           4
        .value_kind:     hidden_block_count_z
      - .offset:         28
        .size:           2
        .value_kind:     hidden_group_size_x
      - .offset:         30
        .size:           2
        .value_kind:     hidden_group_size_y
      - .offset:         32
        .size:           2
        .value_kind:     hidden_group_size_z
      - .offset:         34
        .size:           2
        .value_kind:     hidden_remainder_x
      - .offset:         36
        .size:           2
        .value_kind:     hidden_remainder_y
      - .offset:         38
        .size:           2
        .value_kind:     hidden_remainder_z
      - .offset:         56
        .size:           8
        .value_kind:     hidden_global_offset_x
      - .offset:         64
        .size:           8
        .value_kind:     hidden_global_offset_y
      - .offset:         72
        .size:           8
        .value_kind:     hidden_global_offset_z
      - .offset:         80
        .size:           2
        .value_kind:     hidden_grid_dims
    .group_segment_fixed_size: 0
    .kernarg_segment_align: 8
    .kernarg_segment_size: 272
    .language:       OpenCL C
    .language_version:
      - 2
      - 0
    .max_flat_workgroup_size: 1024
    .name:           zero_vec
    .private_segment_fixed_size: 0
    .sgpr_count:     11
    .sgpr_spill_count: 0
    .symbol:         zero_vec.kd
    .uniform_work_group_size: 1
    .uses_dynamic_stack: false
    .vgpr_count:     4
    .vgpr_spill_count: 0
    .wavefront_size: 64
  - .agpr_count:     0
    .args:
      - .address_space:  global
        .offset:         0
        .size:           8
        .value_kind:     global_buffer
      - .address_space:  global
        .offset:         8
        .size:           8
        .value_kind:     global_buffer
      - .address_space:  global
        .offset:         16
        .size:           8
        .value_kind:     global_buffer
      - .address_space:  global
        .offset:         24
        .size:           8
        .value_kind:     global_buffer
      - .offset:         32
        .size:           24
        .value_kind:     by_value
      - .offset:         56
        .size:           4
        .value_kind:     hidden_block_count_x
      - .offset:         60
        .size:           4
        .value_kind:     hidden_block_count_y
      - .offset:         64
        .size:           4
        .value_kind:     hidden_block_count_z
      - .offset:         68
        .size:           2
        .value_kind:     hidden_group_size_x
      - .offset:         70
        .size:           2
        .value_kind:     hidden_group_size_y
      - .offset:         72
        .size:           2
        .value_kind:     hidden_group_size_z
      - .offset:         74
        .size:           2
        .value_kind:     hidden_remainder_x
      - .offset:         76
        .size:           2
        .value_kind:     hidden_remainder_y
      - .offset:         78
        .size:           2
        .value_kind:     hidden_remainder_z
      - .offset:         96
        .size:           8
        .value_kind:     hidden_global_offset_x
      - .offset:         104
        .size:           8
        .value_kind:     hidden_global_offset_y
      - .offset:         112
        .size:           8
        .value_kind:     hidden_global_offset_z
      - .offset:         120
        .size:           2
        .value_kind:     hidden_grid_dims
      - .offset:         176
        .size:           4
        .value_kind:     hidden_dynamic_lds_size
    .group_segment_fixed_size: 264
    .kernarg_segment_align: 8
    .kernarg_segment_size: 312
    .language:       OpenCL C
    .language_version:
      - 2
      - 0
    .max_flat_workgroup_size: 1024
    .name:           gemma_attention
    .private_segment_fixed_size: 0
    .sgpr_count:     38
    .sgpr_spill_count: 0
    .symbol:         gemma_attention.kd
    .uniform_work_group_size: 1
    .uses_dynamic_stack: false
    .vgpr_count:     16
    .vgpr_spill_count: 0
    .wavefront_size: 64
  - .agpr_count:     0
    .args:
      - .address_space:  global
        .offset:         0
        .size:           8
        .value_kind:     global_buffer
      - .address_space:  global
        .offset:         8
        .size:           8
        .value_kind:     global_buffer
      - .address_space:  global
        .offset:         16
        .size:           8
        .value_kind:     global_buffer
      - .offset:         24
        .size:           8
        .value_kind:     by_value
      - .offset:         32
        .size:           4
        .value_kind:     hidden_block_count_x
      - .offset:         36
        .size:           4
        .value_kind:     hidden_block_count_y
      - .offset:         40
        .size:           4
        .value_kind:     hidden_block_count_z
      - .offset:         44
        .size:           2
        .value_kind:     hidden_group_size_x
      - .offset:         46
        .size:           2
        .value_kind:     hidden_group_size_y
      - .offset:         48
        .size:           2
        .value_kind:     hidden_group_size_z
      - .offset:         50
        .size:           2
        .value_kind:     hidden_remainder_x
      - .offset:         52
        .size:           2
        .value_kind:     hidden_remainder_y
      - .offset:         54
        .size:           2
        .value_kind:     hidden_remainder_z
      - .offset:         72
        .size:           8
        .value_kind:     hidden_global_offset_x
      - .offset:         80
        .size:           8
        .value_kind:     hidden_global_offset_y
      - .offset:         88
        .size:           8
        .value_kind:     hidden_global_offset_z
      - .offset:         96
        .size:           2
        .value_kind:     hidden_grid_dims
    .group_segment_fixed_size: 0
    .kernarg_segment_align: 8
    .kernarg_segment_size: 288
    .language:       OpenCL C
    .language_version:
      - 2
      - 0
    .max_flat_workgroup_size: 1024
    .name:           deinterleave_qgate
    .private_segment_fixed_size: 0
    .sgpr_count:     14
    .sgpr_spill_count: 0
    .symbol:         deinterleave_qgate.kd
    .uniform_work_group_size: 1
    .uses_dynamic_stack: false
    .vgpr_count:     9
    .vgpr_spill_count: 0
    .wavefront_size: 64
amdhsa.target:   amdgcn-amd-amdhsa--gfx90a
amdhsa.version:
  - 1
  - 2
...

	.end_amdgpu_metadata
